;; amdgpu-corpus repo=ROCm/rocSPARSE kind=compiled arch=gfx1030 opt=O3
	.amdgcn_target "amdgcn-amd-amdhsa--gfx1030"
	.amdhsa_code_object_version 6
	.section	.text._ZN9rocsparseL19gpsv_strided_gatherILj256EfEEviiiPKT0_PS1_,"axG",@progbits,_ZN9rocsparseL19gpsv_strided_gatherILj256EfEEviiiPKT0_PS1_,comdat
	.globl	_ZN9rocsparseL19gpsv_strided_gatherILj256EfEEviiiPKT0_PS1_ ; -- Begin function _ZN9rocsparseL19gpsv_strided_gatherILj256EfEEviiiPKT0_PS1_
	.p2align	8
	.type	_ZN9rocsparseL19gpsv_strided_gatherILj256EfEEviiiPKT0_PS1_,@function
_ZN9rocsparseL19gpsv_strided_gatherILj256EfEEviiiPKT0_PS1_: ; @_ZN9rocsparseL19gpsv_strided_gatherILj256EfEEviiiPKT0_PS1_
; %bb.0:
	s_clause 0x1
	s_load_dword s7, s[4:5], 0x2c
	s_load_dwordx4 s[0:3], s[4:5], 0x0
	s_waitcnt lgkmcnt(0)
	s_and_b32 s3, s7, 0xffff
	s_cmp_gt_i32 s0, 0
	v_mad_u64_u32 v[0:1], null, s6, s3, v[0:1]
	s_cselect_b32 s3, -1, 0
	v_cmp_gt_i32_e32 vcc_lo, s1, v0
	s_and_b32 s3, vcc_lo, s3
	s_and_saveexec_b32 s6, s3
	s_cbranch_execz .LBB0_3
; %bb.1:
	s_load_dwordx4 s[4:7], s[4:5], 0x10
	v_mov_b32_e32 v2, v0
	.p2align	6
.LBB0_2:                                ; =>This Inner Loop Header: Depth=1
	v_ashrrev_i32_e32 v1, 31, v0
	s_add_i32 s0, s0, -1
	s_cmp_lg_u32 s0, 0
	v_lshlrev_b64 v[3:4], 2, v[0:1]
	v_add_nc_u32_e32 v0, s2, v0
	s_waitcnt lgkmcnt(0)
	v_add_co_u32 v3, vcc_lo, s4, v3
	v_add_co_ci_u32_e64 v4, null, s5, v4, vcc_lo
	global_load_dword v1, v[3:4], off
	v_ashrrev_i32_e32 v3, 31, v2
	v_lshlrev_b64 v[3:4], 2, v[2:3]
	v_add_nc_u32_e32 v2, s1, v2
	v_add_co_u32 v3, vcc_lo, s6, v3
	v_add_co_ci_u32_e64 v4, null, s7, v4, vcc_lo
	s_waitcnt vmcnt(0)
	global_store_dword v[3:4], v1, off
	s_cbranch_scc1 .LBB0_2
.LBB0_3:
	s_endpgm
	.section	.rodata,"a",@progbits
	.p2align	6, 0x0
	.amdhsa_kernel _ZN9rocsparseL19gpsv_strided_gatherILj256EfEEviiiPKT0_PS1_
		.amdhsa_group_segment_fixed_size 0
		.amdhsa_private_segment_fixed_size 0
		.amdhsa_kernarg_size 288
		.amdhsa_user_sgpr_count 6
		.amdhsa_user_sgpr_private_segment_buffer 1
		.amdhsa_user_sgpr_dispatch_ptr 0
		.amdhsa_user_sgpr_queue_ptr 0
		.amdhsa_user_sgpr_kernarg_segment_ptr 1
		.amdhsa_user_sgpr_dispatch_id 0
		.amdhsa_user_sgpr_flat_scratch_init 0
		.amdhsa_user_sgpr_private_segment_size 0
		.amdhsa_wavefront_size32 1
		.amdhsa_uses_dynamic_stack 0
		.amdhsa_system_sgpr_private_segment_wavefront_offset 0
		.amdhsa_system_sgpr_workgroup_id_x 1
		.amdhsa_system_sgpr_workgroup_id_y 0
		.amdhsa_system_sgpr_workgroup_id_z 0
		.amdhsa_system_sgpr_workgroup_info 0
		.amdhsa_system_vgpr_workitem_id 0
		.amdhsa_next_free_vgpr 5
		.amdhsa_next_free_sgpr 8
		.amdhsa_reserve_vcc 1
		.amdhsa_reserve_flat_scratch 0
		.amdhsa_float_round_mode_32 0
		.amdhsa_float_round_mode_16_64 0
		.amdhsa_float_denorm_mode_32 3
		.amdhsa_float_denorm_mode_16_64 3
		.amdhsa_dx10_clamp 1
		.amdhsa_ieee_mode 1
		.amdhsa_fp16_overflow 0
		.amdhsa_workgroup_processor_mode 1
		.amdhsa_memory_ordered 1
		.amdhsa_forward_progress 1
		.amdhsa_shared_vgpr_count 0
		.amdhsa_exception_fp_ieee_invalid_op 0
		.amdhsa_exception_fp_denorm_src 0
		.amdhsa_exception_fp_ieee_div_zero 0
		.amdhsa_exception_fp_ieee_overflow 0
		.amdhsa_exception_fp_ieee_underflow 0
		.amdhsa_exception_fp_ieee_inexact 0
		.amdhsa_exception_int_div_zero 0
	.end_amdhsa_kernel
	.section	.text._ZN9rocsparseL19gpsv_strided_gatherILj256EfEEviiiPKT0_PS1_,"axG",@progbits,_ZN9rocsparseL19gpsv_strided_gatherILj256EfEEviiiPKT0_PS1_,comdat
.Lfunc_end0:
	.size	_ZN9rocsparseL19gpsv_strided_gatherILj256EfEEviiiPKT0_PS1_, .Lfunc_end0-_ZN9rocsparseL19gpsv_strided_gatherILj256EfEEviiiPKT0_PS1_
                                        ; -- End function
	.set _ZN9rocsparseL19gpsv_strided_gatherILj256EfEEviiiPKT0_PS1_.num_vgpr, 5
	.set _ZN9rocsparseL19gpsv_strided_gatherILj256EfEEviiiPKT0_PS1_.num_agpr, 0
	.set _ZN9rocsparseL19gpsv_strided_gatherILj256EfEEviiiPKT0_PS1_.numbered_sgpr, 8
	.set _ZN9rocsparseL19gpsv_strided_gatherILj256EfEEviiiPKT0_PS1_.num_named_barrier, 0
	.set _ZN9rocsparseL19gpsv_strided_gatherILj256EfEEviiiPKT0_PS1_.private_seg_size, 0
	.set _ZN9rocsparseL19gpsv_strided_gatherILj256EfEEviiiPKT0_PS1_.uses_vcc, 1
	.set _ZN9rocsparseL19gpsv_strided_gatherILj256EfEEviiiPKT0_PS1_.uses_flat_scratch, 0
	.set _ZN9rocsparseL19gpsv_strided_gatherILj256EfEEviiiPKT0_PS1_.has_dyn_sized_stack, 0
	.set _ZN9rocsparseL19gpsv_strided_gatherILj256EfEEviiiPKT0_PS1_.has_recursion, 0
	.set _ZN9rocsparseL19gpsv_strided_gatherILj256EfEEviiiPKT0_PS1_.has_indirect_call, 0
	.section	.AMDGPU.csdata,"",@progbits
; Kernel info:
; codeLenInByte = 232
; TotalNumSgprs: 10
; NumVgprs: 5
; ScratchSize: 0
; MemoryBound: 0
; FloatMode: 240
; IeeeMode: 1
; LDSByteSize: 0 bytes/workgroup (compile time only)
; SGPRBlocks: 0
; VGPRBlocks: 0
; NumSGPRsForWavesPerEU: 10
; NumVGPRsForWavesPerEU: 5
; Occupancy: 16
; WaveLimiterHint : 0
; COMPUTE_PGM_RSRC2:SCRATCH_EN: 0
; COMPUTE_PGM_RSRC2:USER_SGPR: 6
; COMPUTE_PGM_RSRC2:TRAP_HANDLER: 0
; COMPUTE_PGM_RSRC2:TGID_X_EN: 1
; COMPUTE_PGM_RSRC2:TGID_Y_EN: 0
; COMPUTE_PGM_RSRC2:TGID_Z_EN: 0
; COMPUTE_PGM_RSRC2:TIDIG_COMP_CNT: 0
	.section	.text._ZN9rocsparseL44gpsv_interleaved_batch_householder_qr_kernelILj256EfEEviiiPT0_S2_S2_S2_S2_S2_S2_S2_S2_,"axG",@progbits,_ZN9rocsparseL44gpsv_interleaved_batch_householder_qr_kernelILj256EfEEviiiPT0_S2_S2_S2_S2_S2_S2_S2_S2_,comdat
	.globl	_ZN9rocsparseL44gpsv_interleaved_batch_householder_qr_kernelILj256EfEEviiiPT0_S2_S2_S2_S2_S2_S2_S2_S2_ ; -- Begin function _ZN9rocsparseL44gpsv_interleaved_batch_householder_qr_kernelILj256EfEEviiiPT0_S2_S2_S2_S2_S2_S2_S2_S2_
	.p2align	8
	.type	_ZN9rocsparseL44gpsv_interleaved_batch_householder_qr_kernelILj256EfEEviiiPT0_S2_S2_S2_S2_S2_S2_S2_S2_,@function
_ZN9rocsparseL44gpsv_interleaved_batch_householder_qr_kernelILj256EfEEviiiPT0_S2_S2_S2_S2_S2_S2_S2_S2_: ; @_ZN9rocsparseL44gpsv_interleaved_batch_householder_qr_kernelILj256EfEEviiiPT0_S2_S2_S2_S2_S2_S2_S2_S2_
; %bb.0:
	s_clause 0x1
	s_load_dword s0, s[4:5], 0x64
	s_load_dwordx4 s[8:11], s[4:5], 0x0
	s_waitcnt lgkmcnt(0)
	s_and_b32 s0, s0, 0xffff
	s_mul_i32 s11, s6, s0
	s_mov_b32 s0, exec_lo
	v_add_nc_u32_e32 v1, s11, v0
	v_cmpx_gt_i32_e64 s9, v1
	s_cbranch_execz .LBB1_24
; %bb.1:
	s_clause 0x3
	s_load_dwordx2 s[6:7], s[4:5], 0x50
	s_load_dwordx4 s[12:15], s[4:5], 0x40
	s_load_dwordx4 s[16:19], s[4:5], 0x20
	s_load_dwordx2 s[20:21], s[4:5], 0x30
	s_cmp_lt_i32 s8, 2
	s_cbranch_scc1 .LBB1_11
; %bb.2:
	s_load_dwordx2 s[22:23], s[4:5], 0x18
	s_add_i32 s26, s8, -2
	s_mov_b32 s0, 0
	s_cmp_eq_u32 s26, 0
	s_cbranch_scc1 .LBB1_8
; %bb.3:
	s_load_dwordx2 s[24:25], s[4:5], 0x10
	v_add_nc_u32_e32 v14, s9, v0
	v_lshl_add_u32 v15, s9, 1, v0
	v_lshl_add_u32 v16, s10, 1, v0
	v_add_nc_u32_e32 v17, s10, v0
	v_mov_b32_e32 v18, v0
	v_mov_b32_e32 v19, v0
	s_mov_b32 s27, 0
	s_branch .LBB1_5
.LBB1_4:                                ;   in Loop: Header=BB1_5 Depth=1
	s_or_b32 exec_lo, exec_lo, s28
	v_add_nc_u32_e32 v19, s9, v19
	v_add_nc_u32_e32 v14, s9, v14
	;; [unrolled: 1-line block ×6, first 2 shown]
	s_add_i32 s27, s27, 1
	s_cmp_eq_u32 s26, s27
	s_cbranch_scc1 .LBB1_7
.LBB1_5:                                ; =>This Inner Loop Header: Depth=1
	v_add_nc_u32_e32 v2, s11, v16
	v_add_nc_u32_e32 v4, s11, v17
	s_mov_b32 s28, exec_lo
	v_ashrrev_i32_e32 v3, 31, v2
	v_ashrrev_i32_e32 v5, 31, v4
	v_lshlrev_b64 v[12:13], 2, v[2:3]
	v_lshlrev_b64 v[10:11], 2, v[4:5]
	s_waitcnt lgkmcnt(0)
	v_add_co_u32 v2, vcc_lo, s24, v12
	v_add_co_ci_u32_e64 v3, null, s25, v13, vcc_lo
	v_add_co_u32 v4, vcc_lo, s22, v10
	v_add_co_ci_u32_e64 v5, null, s23, v11, vcc_lo
	global_load_dword v20, v[2:3], off
	global_load_dword v21, v[4:5], off
	s_waitcnt vmcnt(1)
	v_mul_f32_e32 v22, v20, v20
	s_waitcnt vmcnt(0)
	v_fmac_f32_e32 v22, v21, v21
	v_cmpx_neq_f32_e32 0, v22
	s_cbranch_execz .LBB1_4
; %bb.6:                                ;   in Loop: Header=BB1_5 Depth=1
	v_add_nc_u32_e32 v6, s11, v18
	v_ashrrev_i32_e32 v7, 31, v6
	v_lshlrev_b64 v[23:24], 2, v[6:7]
	v_add_nc_u32_e32 v6, s11, v19
	v_ashrrev_i32_e32 v7, 31, v6
	v_add_co_u32 v25, vcc_lo, s16, v23
	v_add_co_ci_u32_e64 v26, null, s17, v24, vcc_lo
	v_lshlrev_b64 v[27:28], 2, v[6:7]
	v_add_co_u32 v8, vcc_lo, s20, v10
	global_load_dword v45, v[25:26], off
	v_add_co_ci_u32_e64 v9, null, s21, v11, vcc_lo
	v_add_co_u32 v29, vcc_lo, s12, v27
	v_add_co_ci_u32_e64 v30, null, s13, v28, vcc_lo
	v_add_co_u32 v6, vcc_lo, s18, v12
	global_load_dword v46, v[8:9], off
	global_load_dword v43, v[29:30], off
	v_add_co_ci_u32_e64 v7, null, s19, v13, vcc_lo
	global_load_dword v47, v[6:7], off
	s_waitcnt vmcnt(3)
	v_fma_f32 v31, v45, v45, v22
	v_mul_f32_e32 v32, 0x4f800000, v31
	v_cmp_gt_f32_e32 vcc_lo, 0xf800000, v31
	v_cndmask_b32_e32 v31, v31, v32, vcc_lo
	v_sqrt_f32_e32 v32, v31
	v_add_nc_u32_e32 v33, -1, v32
	v_add_nc_u32_e32 v34, 1, v32
	v_fma_f32 v35, -v33, v32, v31
	v_fma_f32 v36, -v34, v32, v31
	v_cmp_ge_f32_e64 s0, 0, v35
	v_cmp_lt_f32_e64 s1, 0, v36
	v_cndmask_b32_e64 v32, v32, v33, s0
	v_cmp_class_f32_e64 s0, v31, 0x260
	v_cndmask_b32_e64 v32, v32, v34, s1
	v_add_co_u32 v35, s1, s16, v12
	v_mul_f32_e32 v33, 0x37800000, v32
	v_cndmask_b32_e32 v32, v32, v33, vcc_lo
	v_cmp_lt_f32_e32 vcc_lo, 0, v45
	v_cndmask_b32_e64 v31, v32, v31, s0
	v_add_co_u32 v33, s0, s20, v12
	v_add_co_ci_u32_e64 v34, null, s21, v13, s0
	v_cndmask_b32_e64 v32, -v31, v31, vcc_lo
	v_add_co_u32 v31, vcc_lo, s16, v10
	v_add_co_u32 v10, s3, s18, v10
	v_add_f32_e32 v42, v45, v32
	v_add_co_u32 v12, s2, s22, v12
	v_div_scale_f32 v38, null, v42, v42, v21
	v_mul_f32_e32 v32, v42, v42
	v_div_scale_f32 v41, null, v42, v42, v20
	v_rcp_f32_e32 v39, v38
	v_fmac_f32_e32 v22, v42, v42
	v_add_f32_e32 v44, v32, v32
	v_rcp_f32_e32 v48, v41
	v_add_co_ci_u32_e64 v32, null, s17, v11, vcc_lo
	v_div_scale_f32 v40, vcc_lo, v21, v42, v21
	v_div_scale_f32 v49, null, v22, v22, v44
	v_fma_f32 v36, -v38, v39, 1.0
	v_div_scale_f32 v52, s0, v20, v42, v20
	v_rcp_f32_e32 v50, v49
	v_fma_f32 v37, -v41, v48, 1.0
	v_fmac_f32_e32 v39, v36, v39
	v_add_co_ci_u32_e64 v36, null, s17, v13, s1
	v_div_scale_f32 v54, s1, v44, v22, v44
	v_mul_f32_e32 v51, v40, v39
	v_fmac_f32_e32 v48, v37, v48
	v_add_co_ci_u32_e64 v11, null, s19, v11, s3
	v_fma_f32 v37, -v49, v50, 1.0
	v_fma_f32 v53, -v38, v51, v40
	v_add_co_ci_u32_e64 v13, null, s23, v13, s2
	v_fmac_f32_e32 v50, v37, v50
	v_fmac_f32_e32 v51, v53, v39
	v_mul_f32_e32 v53, v52, v48
	v_add_nc_u32_e32 v37, s11, v14
	v_mul_f32_e32 v55, v54, v50
	v_fma_f32 v38, -v38, v51, v40
	v_fma_f32 v40, -v41, v53, v52
	;; [unrolled: 1-line block ×3, first 2 shown]
	v_div_fmas_f32 v51, v38, v39, v51
	v_fmac_f32_e32 v53, v40, v48
	v_add_co_u32 v39, vcc_lo, s18, v23
	v_add_co_ci_u32_e64 v40, null, s19, v24, vcc_lo
	v_fma_f32 v41, -v41, v53, v52
	v_fmac_f32_e32 v55, v56, v50
	s_mov_b32 vcc_lo, s0
	global_load_dword v52, v[31:32], off
	global_load_dword v56, v[39:40], off
	v_ashrrev_i32_e32 v38, 31, v37
	v_div_fmas_f32 v48, v41, v48, v53
	v_fma_f32 v41, -v49, v55, v54
	v_div_fixup_f32 v49, v51, v42, v21
	s_mov_b32 vcc_lo, s1
	global_load_dword v53, v[10:11], off
	global_load_dword v57, v[12:13], off
	v_lshlrev_b64 v[37:38], 2, v[37:38]
	v_div_fmas_f32 v50, v41, v50, v55
	v_div_fixup_f32 v48, v48, v42, v20
	s_waitcnt vmcnt(5)
	v_fma_f32 v51, v49, v46, v43
	v_fma_f32 v54, v49, v21, v45
	v_div_fixup_f32 v50, v50, v22, v44
	v_add_co_u32 v41, vcc_lo, s6, v37
	s_waitcnt vmcnt(4)
	v_fmac_f32_e32 v51, v48, v47
	v_add_co_u32 v37, s0, s12, v37
	v_add_co_ci_u32_e64 v42, null, s7, v38, vcc_lo
	v_add_co_u32 v22, vcc_lo, s20, v23
	v_add_co_ci_u32_e64 v38, null, s13, v38, s0
	v_fma_f32 v44, -v51, v50, v43
	v_add_co_ci_u32_e64 v23, null, s21, v24, vcc_lo
	global_load_dword v24, v[37:38], off
	v_fmac_f32_e32 v54, v48, v20
	global_store_dword v[29:30], v44, off
	global_load_dword v29, v[22:23], off
	global_load_dword v30, v[35:36], off
	v_add_nc_u32_e32 v20, s11, v15
	v_fma_f32 v45, -v54, v50, v45
	v_add_co_u32 v43, vcc_lo, s14, v27
	v_add_co_ci_u32_e64 v44, null, s15, v28, vcc_lo
	v_ashrrev_i32_e32 v21, 31, v20
	v_add_co_u32 v27, s0, s6, v27
	global_store_dword v[25:26], v45, off
	global_load_dword v25, v[43:44], off
	v_lshlrev_b64 v[20:21], 2, v[20:21]
	v_add_co_ci_u32_e64 v28, null, s7, v28, s0
	s_clause 0x1
	global_load_dword v45, v[41:42], off
	global_load_dword v55, v[27:28], off
	v_add_co_u32 v20, vcc_lo, s6, v20
	v_add_co_ci_u32_e64 v21, null, s7, v21, vcc_lo
	v_mul_f32_e32 v51, v51, v50
	s_waitcnt vmcnt(8)
	v_fma_f32 v54, v49, v52, v56
	s_waitcnt vmcnt(6)
	v_fmac_f32_e32 v54, v48, v57
	v_fma_f32 v26, -v54, v50, v56
	v_mul_f32_e32 v54, v54, v50
	global_store_dword v[39:40], v26, off
	global_load_dword v26, v[33:34], off
	global_load_dword v39, v[20:21], off
	global_store_dword v[4:5], v49, off
	global_store_dword v[2:3], v48, off
	s_waitcnt vmcnt(6)
	v_fma_f32 v40, v49, v53, v29
	s_waitcnt vmcnt(5)
	v_fmac_f32_e32 v40, v48, v30
	v_fma_f32 v29, -v40, v50, v29
	v_mul_f32_e32 v40, v40, v50
	s_waitcnt vmcnt(4)
	v_fma_f32 v24, v49, v24, v25
	global_store_dword v[22:23], v29, off
	global_load_dword v22, v[37:38], off
	v_fma_f32 v23, v49, v49, 1.0
	v_fma_f32 v30, -v40, v48, v30
	v_fmac_f32_e32 v23, v48, v48
	v_div_scale_f32 v29, null, v23, v23, 2.0
	v_rcp_f32_e32 v4, v29
	v_fma_f32 v5, -v29, v4, 1.0
	v_fmac_f32_e32 v4, v5, v4
	v_div_scale_f32 v5, vcc_lo, 2.0, v23, 2.0
	v_mul_f32_e32 v2, v5, v4
	v_fma_f32 v3, -v29, v2, v5
	v_fmac_f32_e32 v2, v3, v4
	s_waitcnt vmcnt(3)
	v_fma_f32 v3, v49, v45, v55
	v_fma_f32 v5, -v29, v2, v5
	v_fma_f32 v29, -v40, v49, v53
	;; [unrolled: 1-line block ×3, first 2 shown]
	v_div_fmas_f32 v2, v5, v4, v2
	v_fma_f32 v4, -v51, v49, v46
	v_fma_f32 v5, -v54, v48, v57
	v_div_fixup_f32 v2, v2, v23, 2.0
	s_waitcnt vmcnt(2)
	v_fmac_f32_e32 v24, v48, v26
	s_waitcnt vmcnt(1)
	v_fmac_f32_e32 v3, v48, v39
	v_fma_f32 v25, -v24, v50, v25
	v_mul_f32_e32 v24, v24, v50
	global_store_dword v[43:44], v25, off
	v_fma_f32 v25, -v54, v49, v52
	global_store_dword v[31:32], v25, off
	global_store_dword v[10:11], v29, off
	;; [unrolled: 1-line block ×3, first 2 shown]
	v_mul_f32_e32 v4, v3, v2
	v_fma_f32 v23, -v24, v48, v26
	v_fma_f32 v2, -v3, v2, v55
	global_store_dword v[12:13], v5, off
	global_store_dword v[35:36], v30, off
	;; [unrolled: 1-line block ×3, first 2 shown]
	v_fma_f32 v3, -v49, v4, v45
	v_fma_f32 v4, -v48, v4, v39
	s_waitcnt vmcnt(0)
	v_fma_f32 v5, -v24, v49, v22
	global_store_dword v[33:34], v23, off
	global_store_dword v[27:28], v2, off
	;; [unrolled: 1-line block ×5, first 2 shown]
	s_branch .LBB1_4
.LBB1_7:
	s_mov_b32 s0, s26
.LBB1_8:
	v_mad_u64_u32 v[6:7], null, s0, s10, v[1:2]
	s_mov_b32 s2, exec_lo
	v_add_nc_u32_e32 v2, s10, v6
	v_ashrrev_i32_e32 v3, 31, v2
	v_lshlrev_b64 v[4:5], 2, v[2:3]
	s_waitcnt lgkmcnt(0)
	v_add_co_u32 v2, vcc_lo, s22, v4
	v_add_co_ci_u32_e64 v3, null, s23, v5, vcc_lo
	global_load_dword v8, v[2:3], off
	s_waitcnt vmcnt(0)
	v_fma_f32 v9, v8, v8, 0
	v_cmpx_neq_f32_e32 0, v9
	s_cbranch_execz .LBB1_10
; %bb.9:
	v_ashrrev_i32_e32 v7, 31, v6
	v_mad_u64_u32 v[12:13], null, s0, s9, v[1:2]
	v_lshlrev_b64 v[6:7], 2, v[6:7]
	v_ashrrev_i32_e32 v13, 31, v12
	v_add_co_u32 v10, vcc_lo, s16, v6
	v_add_co_ci_u32_e64 v11, null, s17, v7, vcc_lo
	v_lshlrev_b64 v[13:14], 2, v[12:13]
	v_add_co_u32 v15, vcc_lo, s20, v4
	global_load_dword v29, v[10:11], off
	v_add_co_ci_u32_e64 v16, null, s21, v5, vcc_lo
	v_add_co_u32 v17, vcc_lo, s12, v13
	v_add_co_ci_u32_e64 v18, null, s13, v14, vcc_lo
	global_load_dword v1, v[15:16], off
	global_load_dword v30, v[17:18], off
	s_waitcnt vmcnt(2)
	v_fma_f32 v19, v29, v29, v9
	v_mul_f32_e32 v20, 0x4f800000, v19
	v_cmp_gt_f32_e32 vcc_lo, 0xf800000, v19
	v_cndmask_b32_e32 v22, v19, v20, vcc_lo
	v_sqrt_f32_e32 v19, v22
	v_add_nc_u32_e32 v20, -1, v19
	v_add_nc_u32_e32 v21, 1, v19
	v_fma_f32 v23, -v20, v19, v22
	v_fma_f32 v24, -v21, v19, v22
	v_cmp_ge_f32_e64 s0, 0, v23
	v_cndmask_b32_e64 v19, v19, v20, s0
	v_cmp_lt_f32_e64 s0, 0, v24
	v_cndmask_b32_e64 v23, v19, v21, s0
	v_add_nc_u32_e32 v21, s9, v12
	v_add_co_u32 v19, s0, s16, v4
	v_add_co_ci_u32_e64 v20, null, s17, v5, s0
	v_mul_f32_e32 v24, 0x37800000, v23
	v_add_co_u32 v4, s0, s18, v4
	v_add_co_ci_u32_e64 v5, null, s19, v5, s0
	v_cndmask_b32_e32 v12, v23, v24, vcc_lo
	v_add_co_u32 v23, vcc_lo, s18, v6
	v_add_co_ci_u32_e64 v24, null, s19, v7, vcc_lo
	v_cmp_class_f32_e64 vcc_lo, v22, 0x260
	global_load_dword v31, v[19:20], off
	v_cndmask_b32_e32 v12, v12, v22, vcc_lo
	v_add_co_u32 v6, vcc_lo, s20, v6
	v_add_co_ci_u32_e64 v7, null, s21, v7, vcc_lo
	v_cmp_lt_f32_e32 vcc_lo, 0, v29
	v_ashrrev_i32_e32 v22, 31, v21
	s_clause 0x1
	global_load_dword v32, v[4:5], off
	global_load_dword v33, v[23:24], off
	;; [unrolled: 1-line block ×3, first 2 shown]
	v_cndmask_b32_e64 v12, -v12, v12, vcc_lo
	v_add_co_u32 v25, vcc_lo, s14, v13
	v_add_co_ci_u32_e64 v26, null, s15, v14, vcc_lo
	v_add_f32_e32 v35, v29, v12
	v_add_co_u32 v12, vcc_lo, s6, v13
	v_add_co_ci_u32_e64 v13, null, s7, v14, vcc_lo
	v_div_scale_f32 v36, null, v35, v35, v8
	v_mul_f32_e32 v27, v35, v35
	v_div_scale_f32 v37, null, v35, v35, 0
	v_fmac_f32_e32 v9, v35, v35
	v_rcp_f32_e32 v14, v36
	v_add_f32_e32 v39, v27, v27
	v_rcp_f32_e32 v38, v37
	v_lshlrev_b64 v[21:22], 2, v[21:22]
	v_div_scale_f32 v45, s0, 0, v35, 0
	v_div_scale_f32 v40, null, v9, v9, v39
	global_load_dword v49, v[25:26], off
	global_load_dword v50, v[12:13], off
	v_add_co_u32 v27, vcc_lo, s6, v21
	v_fma_f32 v42, -v36, v14, 1.0
	v_rcp_f32_e32 v44, v40
	v_add_co_ci_u32_e64 v28, null, s7, v22, vcc_lo
	v_div_scale_f32 v41, vcc_lo, v8, v35, v8
	v_fma_f32 v43, -v37, v38, 1.0
	v_fmac_f32_e32 v14, v42, v14
	v_add_co_u32 v21, s1, s12, v21
	v_add_co_ci_u32_e64 v22, null, s13, v22, s1
	v_fmac_f32_e32 v38, v43, v38
	v_mul_f32_e32 v42, v41, v14
	v_fma_f32 v43, -v40, v44, 1.0
	v_div_scale_f32 v47, s1, v39, v9, v39
	v_mul_f32_e32 v46, v45, v38
	v_fma_f32 v48, -v36, v42, v41
	v_fmac_f32_e32 v44, v43, v44
	v_fma_f32 v43, -v37, v46, v45
	v_fmac_f32_e32 v42, v48, v14
	v_mul_f32_e32 v48, v47, v44
	v_fmac_f32_e32 v46, v43, v38
	v_fma_f32 v36, -v36, v42, v41
	v_fma_f32 v41, -v40, v48, v47
	global_load_dword v43, v[27:28], off
	global_load_dword v51, v[21:22], off
	v_fma_f32 v37, -v37, v46, v45
	v_div_fmas_f32 v14, v36, v14, v42
	v_fmac_f32_e32 v48, v41, v44
	s_mov_b32 vcc_lo, s0
	v_div_fmas_f32 v36, v37, v38, v46
	v_div_fixup_f32 v14, v14, v35, v8
	v_fma_f32 v37, -v40, v48, v47
	s_mov_b32 vcc_lo, s1
	v_div_fixup_f32 v35, v36, v35, 0
	global_store_dword v[2:3], v14, off
	v_div_fmas_f32 v36, v37, v44, v48
	s_waitcnt vmcnt(8)
	v_fma_f32 v37, v14, v1, v30
	v_fma_f32 v8, v14, v8, v29
	v_div_fixup_f32 v9, v36, v9, v39
	v_fmac_f32_e32 v37, 0, v35
	v_fmac_f32_e32 v8, 0, v35
	v_fma_f32 v30, -v37, v9, v30
	v_fma_f32 v8, -v8, v9, v29
	global_store_dword v[17:18], v30, off
	global_load_dword v17, v[21:22], off
	v_fma_f32 v18, v14, v14, 1.0
	v_fmac_f32_e32 v18, v35, v35
	v_div_scale_f32 v30, null, v18, v18, 2.0
	v_div_scale_f32 v39, vcc_lo, 2.0, v18, 2.0
	v_rcp_f32_e32 v36, v30
	v_fma_f32 v38, -v30, v36, 1.0
	v_fmac_f32_e32 v36, v38, v36
	v_mul_f32_e32 v41, v39, v36
	v_fma_f32 v2, -v30, v41, v39
	v_fmac_f32_e32 v41, v2, v36
	v_fma_f32 v30, -v30, v41, v39
	v_div_fmas_f32 v30, v30, v36, v41
	s_waitcnt vmcnt(6)
	v_fma_f32 v38, v14, v31, v33
	s_waitcnt vmcnt(5)
	v_fma_f32 v40, v14, v32, v34
	v_fmac_f32_e32 v38, 0, v35
	v_fmac_f32_e32 v40, 0, v35
	v_fma_f32 v29, -v38, v9, v33
	v_mul_f32_e32 v2, v38, v9
	v_fma_f32 v33, -v40, v9, v34
	global_store_dword v[10:11], v8, off
	global_store_dword v[23:24], v29, off
	v_div_fixup_f32 v8, v30, v18, 2.0
	v_mul_f32_e32 v3, v40, v9
	v_fma_f32 v2, -v2, v14, v31
	global_store_dword v[6:7], v33, off
	v_fma_f32 v3, -v3, v14, v32
	global_store_dword v[19:20], v2, off
	s_waitcnt vmcnt(2)
	v_fma_f32 v44, v14, v43, v50
	s_waitcnt vmcnt(1)
	v_fma_f32 v42, v14, v51, v49
	v_fmac_f32_e32 v44, 0, v35
	v_fmac_f32_e32 v42, 0, v35
	v_mul_f32_e32 v35, v37, v9
	v_mul_f32_e32 v6, v44, v8
	;; [unrolled: 1-line block ×3, first 2 shown]
	v_fma_f32 v9, -v42, v9, v49
	v_fma_f32 v1, -v35, v14, v1
	;; [unrolled: 1-line block ×4, first 2 shown]
	global_store_dword v[25:26], v9, off
	s_waitcnt vmcnt(0)
	v_fma_f32 v7, -v37, v14, v17
	global_store_dword v[4:5], v3, off
	global_store_dword v[15:16], v1, off
	;; [unrolled: 1-line block ×5, first 2 shown]
.LBB1_10:
	s_or_b32 exec_lo, exec_lo, s2
.LBB1_11:
	s_cmp_lt_i32 s8, 1
	s_cbranch_scc1 .LBB1_24
; %bb.12:
	v_mad_u64_u32 v[1:2], null, s10, s8, v[0:1]
	s_load_dwordx2 s[0:1], s[4:5], 0x38
	s_add_i32 s2, s8, 3
	v_mad_u64_u32 v[2:3], null, s10, s2, v[0:1]
	s_add_i32 s2, s8, 2
	v_mad_u64_u32 v[3:4], null, s10, s2, v[0:1]
	s_add_i32 s2, s8, 1
	v_mad_u64_u32 v[4:5], null, s10, s2, v[0:1]
	s_add_i32 s2, s8, -1
	v_mad_u64_u32 v[5:6], null, s10, s2, v[0:1]
	v_mad_u64_u32 v[6:7], null, s9, s2, v[0:1]
	s_mov_b32 s2, s8
	s_branch .LBB1_14
.LBB1_13:                               ;   in Loop: Header=BB1_14 Depth=1
	s_waitcnt lgkmcnt(0)
	v_add_co_u32 v9, vcc_lo, s6, v9
	v_lshlrev_b64 v[7:8], 2, v[7:8]
	v_add_co_ci_u32_e64 v10, null, s7, v10, vcc_lo
	v_subrev_nc_u32_e32 v1, s10, v1
	v_subrev_nc_u32_e32 v2, s10, v2
	;; [unrolled: 1-line block ×3, first 2 shown]
	global_load_dword v11, v[9:10], off
	v_add_co_u32 v9, vcc_lo, s16, v7
	v_add_co_ci_u32_e64 v10, null, s17, v8, vcc_lo
	v_subrev_nc_u32_e32 v4, s10, v4
	v_subrev_nc_u32_e32 v5, s10, v5
	;; [unrolled: 1-line block ×3, first 2 shown]
	global_load_dword v9, v[9:10], off
	s_add_i32 s3, s2, -1
	s_cmp_gt_u32 s2, 1
	s_mov_b32 s2, s3
	s_waitcnt vmcnt(1)
	v_sub_f32_e32 v0, v11, v0
	s_waitcnt vmcnt(0)
	v_div_scale_f32 v10, null, v9, v9, v0
	v_div_scale_f32 v13, vcc_lo, v0, v9, v0
	v_rcp_f32_e32 v11, v10
	v_fma_f32 v12, -v10, v11, 1.0
	v_fmac_f32_e32 v11, v12, v11
	v_mul_f32_e32 v12, v13, v11
	v_fma_f32 v14, -v10, v12, v13
	v_fmac_f32_e32 v12, v14, v11
	v_fma_f32 v10, -v10, v12, v13
	v_div_fmas_f32 v10, v10, v11, v12
	v_add_co_u32 v7, vcc_lo, s0, v7
	v_add_co_ci_u32_e64 v8, null, s1, v8, vcc_lo
	v_div_fixup_f32 v0, v10, v9, v0
	global_store_dword v[7:8], v0, off
	s_cbranch_scc0 .LBB1_24
.LBB1_14:                               ; =>This Inner Loop Header: Depth=1
	v_add_nc_u32_e32 v7, s11, v5
	v_mov_b32_e32 v0, 0
	s_cmp_ge_i32 s2, s8
	v_ashrrev_i32_e32 v8, 31, v7
	s_cbranch_scc1 .LBB1_16
; %bb.15:                               ;   in Loop: Header=BB1_14 Depth=1
	v_add_nc_u32_e32 v9, s11, v1
	v_lshlrev_b64 v[11:12], 2, v[7:8]
	v_ashrrev_i32_e32 v10, 31, v9
	s_waitcnt lgkmcnt(0)
	v_add_co_u32 v11, vcc_lo, s18, v11
	v_add_co_ci_u32_e64 v12, null, s19, v12, vcc_lo
	v_lshlrev_b64 v[9:10], 2, v[9:10]
	v_add_co_u32 v9, vcc_lo, s0, v9
	v_add_co_ci_u32_e64 v10, null, s1, v10, vcc_lo
	global_load_dword v0, v[11:12], off
	global_load_dword v9, v[9:10], off
	s_waitcnt vmcnt(0)
	v_fma_f32 v0, v0, v9, 0
.LBB1_16:                               ;   in Loop: Header=BB1_14 Depth=1
	s_add_i32 s3, s2, 1
	s_cmp_ge_i32 s3, s8
	s_cbranch_scc1 .LBB1_18
; %bb.17:                               ;   in Loop: Header=BB1_14 Depth=1
	v_add_nc_u32_e32 v9, s11, v4
	v_lshlrev_b64 v[11:12], 2, v[7:8]
	v_ashrrev_i32_e32 v10, 31, v9
	s_waitcnt lgkmcnt(0)
	v_add_co_u32 v11, vcc_lo, s20, v11
	v_add_co_ci_u32_e64 v12, null, s21, v12, vcc_lo
	v_lshlrev_b64 v[9:10], 2, v[9:10]
	v_add_co_u32 v9, vcc_lo, s0, v9
	v_add_co_ci_u32_e64 v10, null, s1, v10, vcc_lo
	global_load_dword v11, v[11:12], off
	global_load_dword v9, v[9:10], off
	s_waitcnt vmcnt(0)
	v_fmac_f32_e32 v0, v11, v9
.LBB1_18:                               ;   in Loop: Header=BB1_14 Depth=1
	v_add_nc_u32_e32 v9, s11, v6
	s_add_i32 s3, s3, 1
	s_mov_b32 s4, -1
	s_cmp_lt_i32 s3, s8
	s_cbranch_scc0 .LBB1_21
; %bb.19:                               ;   in Loop: Header=BB1_14 Depth=1
	s_andn2_b32 vcc_lo, exec_lo, s4
	s_cbranch_vccz .LBB1_22
.LBB1_20:                               ;   in Loop: Header=BB1_14 Depth=1
	v_lshlrev_b64 v[9:10], 2, v[9:10]
	s_add_i32 s3, s3, 1
	s_cmp_ge_i32 s3, s8
	s_cbranch_scc1 .LBB1_13
	s_branch .LBB1_23
.LBB1_21:                               ;   in Loop: Header=BB1_14 Depth=1
	v_ashrrev_i32_e32 v10, 31, v9
	s_cbranch_execnz .LBB1_20
.LBB1_22:                               ;   in Loop: Header=BB1_14 Depth=1
	v_add_nc_u32_e32 v11, s11, v3
	v_ashrrev_i32_e32 v10, 31, v9
	v_ashrrev_i32_e32 v12, 31, v11
	v_lshlrev_b64 v[13:14], 2, v[9:10]
	v_lshlrev_b64 v[11:12], 2, v[11:12]
	s_waitcnt lgkmcnt(0)
	v_add_co_u32 v13, vcc_lo, s12, v13
	v_add_co_ci_u32_e64 v14, null, s13, v14, vcc_lo
	v_add_co_u32 v11, vcc_lo, s0, v11
	v_add_co_ci_u32_e64 v12, null, s1, v12, vcc_lo
	global_load_dword v13, v[13:14], off
	global_load_dword v11, v[11:12], off
	s_waitcnt vmcnt(0)
	v_fmac_f32_e32 v0, v13, v11
	v_lshlrev_b64 v[9:10], 2, v[9:10]
	s_add_i32 s3, s3, 1
	s_cmp_ge_i32 s3, s8
	s_cbranch_scc1 .LBB1_13
.LBB1_23:                               ;   in Loop: Header=BB1_14 Depth=1
	v_add_nc_u32_e32 v11, s11, v2
	s_waitcnt lgkmcnt(0)
	v_add_co_u32 v13, vcc_lo, s14, v9
	v_add_co_ci_u32_e64 v14, null, s15, v10, vcc_lo
	v_ashrrev_i32_e32 v12, 31, v11
	v_lshlrev_b64 v[11:12], 2, v[11:12]
	v_add_co_u32 v11, vcc_lo, s0, v11
	v_add_co_ci_u32_e64 v12, null, s1, v12, vcc_lo
	global_load_dword v13, v[13:14], off
	global_load_dword v11, v[11:12], off
	s_waitcnt vmcnt(0)
	v_fmac_f32_e32 v0, v13, v11
	s_branch .LBB1_13
.LBB1_24:
	s_endpgm
	.section	.rodata,"a",@progbits
	.p2align	6, 0x0
	.amdhsa_kernel _ZN9rocsparseL44gpsv_interleaved_batch_householder_qr_kernelILj256EfEEviiiPT0_S2_S2_S2_S2_S2_S2_S2_S2_
		.amdhsa_group_segment_fixed_size 0
		.amdhsa_private_segment_fixed_size 0
		.amdhsa_kernarg_size 344
		.amdhsa_user_sgpr_count 6
		.amdhsa_user_sgpr_private_segment_buffer 1
		.amdhsa_user_sgpr_dispatch_ptr 0
		.amdhsa_user_sgpr_queue_ptr 0
		.amdhsa_user_sgpr_kernarg_segment_ptr 1
		.amdhsa_user_sgpr_dispatch_id 0
		.amdhsa_user_sgpr_flat_scratch_init 0
		.amdhsa_user_sgpr_private_segment_size 0
		.amdhsa_wavefront_size32 1
		.amdhsa_uses_dynamic_stack 0
		.amdhsa_system_sgpr_private_segment_wavefront_offset 0
		.amdhsa_system_sgpr_workgroup_id_x 1
		.amdhsa_system_sgpr_workgroup_id_y 0
		.amdhsa_system_sgpr_workgroup_id_z 0
		.amdhsa_system_sgpr_workgroup_info 0
		.amdhsa_system_vgpr_workitem_id 0
		.amdhsa_next_free_vgpr 58
		.amdhsa_next_free_sgpr 29
		.amdhsa_reserve_vcc 1
		.amdhsa_reserve_flat_scratch 0
		.amdhsa_float_round_mode_32 0
		.amdhsa_float_round_mode_16_64 0
		.amdhsa_float_denorm_mode_32 3
		.amdhsa_float_denorm_mode_16_64 3
		.amdhsa_dx10_clamp 1
		.amdhsa_ieee_mode 1
		.amdhsa_fp16_overflow 0
		.amdhsa_workgroup_processor_mode 1
		.amdhsa_memory_ordered 1
		.amdhsa_forward_progress 1
		.amdhsa_shared_vgpr_count 0
		.amdhsa_exception_fp_ieee_invalid_op 0
		.amdhsa_exception_fp_denorm_src 0
		.amdhsa_exception_fp_ieee_div_zero 0
		.amdhsa_exception_fp_ieee_overflow 0
		.amdhsa_exception_fp_ieee_underflow 0
		.amdhsa_exception_fp_ieee_inexact 0
		.amdhsa_exception_int_div_zero 0
	.end_amdhsa_kernel
	.section	.text._ZN9rocsparseL44gpsv_interleaved_batch_householder_qr_kernelILj256EfEEviiiPT0_S2_S2_S2_S2_S2_S2_S2_S2_,"axG",@progbits,_ZN9rocsparseL44gpsv_interleaved_batch_householder_qr_kernelILj256EfEEviiiPT0_S2_S2_S2_S2_S2_S2_S2_S2_,comdat
.Lfunc_end1:
	.size	_ZN9rocsparseL44gpsv_interleaved_batch_householder_qr_kernelILj256EfEEviiiPT0_S2_S2_S2_S2_S2_S2_S2_S2_, .Lfunc_end1-_ZN9rocsparseL44gpsv_interleaved_batch_householder_qr_kernelILj256EfEEviiiPT0_S2_S2_S2_S2_S2_S2_S2_S2_
                                        ; -- End function
	.set _ZN9rocsparseL44gpsv_interleaved_batch_householder_qr_kernelILj256EfEEviiiPT0_S2_S2_S2_S2_S2_S2_S2_S2_.num_vgpr, 58
	.set _ZN9rocsparseL44gpsv_interleaved_batch_householder_qr_kernelILj256EfEEviiiPT0_S2_S2_S2_S2_S2_S2_S2_S2_.num_agpr, 0
	.set _ZN9rocsparseL44gpsv_interleaved_batch_householder_qr_kernelILj256EfEEviiiPT0_S2_S2_S2_S2_S2_S2_S2_S2_.numbered_sgpr, 29
	.set _ZN9rocsparseL44gpsv_interleaved_batch_householder_qr_kernelILj256EfEEviiiPT0_S2_S2_S2_S2_S2_S2_S2_S2_.num_named_barrier, 0
	.set _ZN9rocsparseL44gpsv_interleaved_batch_householder_qr_kernelILj256EfEEviiiPT0_S2_S2_S2_S2_S2_S2_S2_S2_.private_seg_size, 0
	.set _ZN9rocsparseL44gpsv_interleaved_batch_householder_qr_kernelILj256EfEEviiiPT0_S2_S2_S2_S2_S2_S2_S2_S2_.uses_vcc, 1
	.set _ZN9rocsparseL44gpsv_interleaved_batch_householder_qr_kernelILj256EfEEviiiPT0_S2_S2_S2_S2_S2_S2_S2_S2_.uses_flat_scratch, 0
	.set _ZN9rocsparseL44gpsv_interleaved_batch_householder_qr_kernelILj256EfEEviiiPT0_S2_S2_S2_S2_S2_S2_S2_S2_.has_dyn_sized_stack, 0
	.set _ZN9rocsparseL44gpsv_interleaved_batch_householder_qr_kernelILj256EfEEviiiPT0_S2_S2_S2_S2_S2_S2_S2_S2_.has_recursion, 0
	.set _ZN9rocsparseL44gpsv_interleaved_batch_householder_qr_kernelILj256EfEEviiiPT0_S2_S2_S2_S2_S2_S2_S2_S2_.has_indirect_call, 0
	.section	.AMDGPU.csdata,"",@progbits
; Kernel info:
; codeLenInByte = 3572
; TotalNumSgprs: 31
; NumVgprs: 58
; ScratchSize: 0
; MemoryBound: 0
; FloatMode: 240
; IeeeMode: 1
; LDSByteSize: 0 bytes/workgroup (compile time only)
; SGPRBlocks: 0
; VGPRBlocks: 7
; NumSGPRsForWavesPerEU: 31
; NumVGPRsForWavesPerEU: 58
; Occupancy: 16
; WaveLimiterHint : 0
; COMPUTE_PGM_RSRC2:SCRATCH_EN: 0
; COMPUTE_PGM_RSRC2:USER_SGPR: 6
; COMPUTE_PGM_RSRC2:TRAP_HANDLER: 0
; COMPUTE_PGM_RSRC2:TGID_X_EN: 1
; COMPUTE_PGM_RSRC2:TGID_Y_EN: 0
; COMPUTE_PGM_RSRC2:TGID_Z_EN: 0
; COMPUTE_PGM_RSRC2:TIDIG_COMP_CNT: 0
	.section	.text._ZN9rocsparseL39gpsv_interleaved_batch_givens_qr_kernelILj128EfEEviiiPT0_S2_S2_S2_S2_S2_S2_S2_,"axG",@progbits,_ZN9rocsparseL39gpsv_interleaved_batch_givens_qr_kernelILj128EfEEviiiPT0_S2_S2_S2_S2_S2_S2_S2_,comdat
	.globl	_ZN9rocsparseL39gpsv_interleaved_batch_givens_qr_kernelILj128EfEEviiiPT0_S2_S2_S2_S2_S2_S2_S2_ ; -- Begin function _ZN9rocsparseL39gpsv_interleaved_batch_givens_qr_kernelILj128EfEEviiiPT0_S2_S2_S2_S2_S2_S2_S2_
	.p2align	8
	.type	_ZN9rocsparseL39gpsv_interleaved_batch_givens_qr_kernelILj128EfEEviiiPT0_S2_S2_S2_S2_S2_S2_S2_,@function
_ZN9rocsparseL39gpsv_interleaved_batch_givens_qr_kernelILj128EfEEviiiPT0_S2_S2_S2_S2_S2_S2_S2_: ; @_ZN9rocsparseL39gpsv_interleaved_batch_givens_qr_kernelILj128EfEEviiiPT0_S2_S2_S2_S2_S2_S2_S2_
; %bb.0:
	s_load_dwordx4 s[16:19], s[4:5], 0x0
	s_lshl_b32 s1, s6, 7
	s_mov_b32 s0, exec_lo
	v_or_b32_e32 v1, s1, v0
	s_waitcnt lgkmcnt(0)
	v_cmpx_gt_i32_e64 s17, v1
	s_cbranch_execz .LBB2_7
; %bb.1:
	s_clause 0x2
	s_load_dwordx2 s[2:3], s[4:5], 0x48
	s_load_dwordx4 s[20:23], s[4:5], 0x38
	s_load_dwordx8 s[8:15], s[4:5], 0x18
	s_add_i32 s6, s16, -2
	s_cmp_lt_i32 s16, 3
	s_cbranch_scc1 .LBB2_4
; %bb.2:
	s_load_dwordx2 s[4:5], s[4:5], 0x10
	v_mov_b32_e32 v3, v1
	v_mov_b32_e32 v2, v1
	s_lshl_b32 s7, s18, 1
	s_mov_b32 s19, s6
.LBB2_3:                                ; =>This Inner Loop Header: Depth=1
	v_add_nc_u32_e32 v4, s7, v3
	v_add_nc_u32_e32 v6, s18, v3
	s_add_i32 s19, s19, -1
	s_cmp_eq_u32 s19, 0
	v_ashrrev_i32_e32 v5, 31, v4
	v_ashrrev_i32_e32 v7, 31, v6
	v_lshlrev_b64 v[4:5], 2, v[4:5]
	v_lshlrev_b64 v[7:8], 2, v[6:7]
	s_waitcnt lgkmcnt(0)
	v_add_co_u32 v9, vcc_lo, s4, v4
	v_add_co_ci_u32_e64 v10, null, s5, v5, vcc_lo
	v_add_co_u32 v11, vcc_lo, s8, v7
	v_add_co_ci_u32_e64 v12, null, s9, v8, vcc_lo
	global_load_dword v39, v[9:10], off
	global_load_dword v40, v[11:12], off
	v_add_co_u32 v9, vcc_lo, s8, v4
	v_add_co_ci_u32_e64 v10, null, s9, v5, vcc_lo
	v_add_co_u32 v13, vcc_lo, s10, v7
	v_add_co_ci_u32_e64 v14, null, s11, v8, vcc_lo
	;; [unrolled: 2-line block ×4, first 2 shown]
	global_load_dword v41, v[15:16], off
	global_load_dword v42, v[9:10], off
	;; [unrolled: 1-line block ×4, first 2 shown]
	v_add_co_u32 v19, vcc_lo, s12, v4
	v_add_co_ci_u32_e64 v20, null, s13, v5, vcc_lo
	v_add_co_u32 v21, vcc_lo, s14, v7
	v_add_co_ci_u32_e64 v22, null, s15, v8, vcc_lo
	;; [unrolled: 2-line block ×5, first 2 shown]
	global_load_dword v45, v[19:20], off
	global_load_dword v46, v[23:24], off
	s_clause 0x1
	global_load_dword v47, v[25:26], off
	global_load_dword v48, v[7:8], off
	;; [unrolled: 1-line block ×3, first 2 shown]
	v_ashrrev_i32_e32 v4, 31, v3
	v_lshlrev_b64 v[4:5], 2, v[3:4]
	v_add_co_u32 v27, vcc_lo, s10, v4
	v_add_co_ci_u32_e64 v28, null, s11, v5, vcc_lo
	s_waitcnt vmcnt(10)
	v_mul_f32_e32 v3, v39, v39
	s_waitcnt vmcnt(9)
	v_fmac_f32_e32 v3, v40, v40
	v_mul_f32_e32 v29, 0x4f800000, v3
	v_cmp_gt_f32_e32 vcc_lo, 0xf800000, v3
	v_cndmask_b32_e32 v3, v3, v29, vcc_lo
	v_sqrt_f32_e32 v29, v3
	v_add_nc_u32_e32 v30, -1, v29
	v_add_nc_u32_e32 v31, 1, v29
	v_fma_f32 v32, -v30, v29, v3
	v_fma_f32 v33, -v31, v29, v3
	v_cmp_ge_f32_e64 s0, 0, v32
	v_cndmask_b32_e64 v29, v29, v30, s0
	v_cmp_lt_f32_e64 s0, 0, v33
	v_cndmask_b32_e64 v29, v29, v31, s0
	v_mul_f32_e32 v30, 0x37800000, v29
	v_cndmask_b32_e32 v29, v29, v30, vcc_lo
	v_cmp_class_f32_e64 vcc_lo, v3, 0x260
	v_cndmask_b32_e32 v3, v29, v3, vcc_lo
	v_div_scale_f32 v29, null, v3, v3, v40
	v_div_scale_f32 v31, null, v3, v3, v39
	v_div_scale_f32 v30, vcc_lo, v40, v3, v40
	v_rcp_f32_e32 v33, v29
	v_rcp_f32_e32 v34, v31
	v_div_scale_f32 v32, s0, v39, v3, v39
	v_fma_f32 v35, -v29, v33, 1.0
	v_fma_f32 v36, -v31, v34, 1.0
	v_fmac_f32_e32 v33, v35, v33
	v_fmac_f32_e32 v34, v36, v34
	v_mul_f32_e32 v35, v30, v33
	v_mul_f32_e32 v36, v32, v34
	v_fma_f32 v37, -v29, v35, v30
	v_fma_f32 v38, -v31, v36, v32
	v_fmac_f32_e32 v35, v37, v33
	v_fmac_f32_e32 v36, v38, v34
	v_fma_f32 v29, -v29, v35, v30
	v_fma_f32 v30, -v31, v36, v32
	v_div_fmas_f32 v29, v29, v33, v35
	s_mov_b32 vcc_lo, s0
	v_div_fmas_f32 v30, v30, v34, v36
	v_add_co_u32 v31, vcc_lo, s12, v4
	v_div_fixup_f32 v50, v29, v3, v40
	v_add_co_ci_u32_e64 v32, null, s13, v5, vcc_lo
	v_div_fixup_f32 v51, v30, v3, v39
	v_add_co_u32 v33, vcc_lo, s14, v4
	s_waitcnt vmcnt(8)
	v_mul_f32_e32 v3, v41, v50
	v_add_co_ci_u32_e64 v34, null, s15, v5, vcc_lo
	s_waitcnt vmcnt(7)
	v_mul_f32_e32 v52, v42, v51
	v_mul_f32_e32 v41, v41, v51
	s_waitcnt vmcnt(5)
	v_fma_f32 v3, -v44, v51, v3
	v_fmac_f32_e32 v52, v43, v50
	global_store_dword v[13:14], v52, off
	global_store_dword v[15:16], v3, off
	global_load_dword v53, v[27:28], off
	v_add_nc_u32_e32 v15, s17, v2
	v_ashrrev_i32_e32 v3, 31, v2
	v_fmac_f32_e32 v41, v44, v50
	v_ashrrev_i32_e32 v16, 31, v15
	v_lshlrev_b64 v[29:30], 2, v[2:3]
	v_lshlrev_b64 v[2:3], 2, v[15:16]
	s_waitcnt vmcnt(3)
	v_mul_f32_e32 v16, v50, v47
	v_add_co_u32 v35, vcc_lo, s20, v29
	v_add_co_ci_u32_e64 v36, null, s21, v30, vcc_lo
	v_add_co_u32 v4, vcc_lo, s2, v4
	v_add_co_ci_u32_e64 v5, null, s3, v5, vcc_lo
	v_add_co_u32 v37, vcc_lo, s20, v2
	v_mul_f32_e32 v2, v50, v45
	v_mul_f32_e32 v45, v51, v45
	v_add_co_ci_u32_e64 v38, null, s21, v3, vcc_lo
	v_mul_f32_e32 v3, v50, v46
	v_mul_f32_e32 v46, v51, v46
	v_mul_f32_e32 v47, v51, v47
	s_waitcnt vmcnt(1)
	v_fma_f32 v2, -v49, v51, v2
	v_fmac_f32_e32 v45, v49, v50
	v_fma_f32 v16, -v48, v51, v16
	global_store_dword v[37:38], v46, off
	v_fmac_f32_e32 v47, v48, v50
	global_load_dword v44, v[35:36], off
	global_store_dword v[17:18], v41, off
	global_store_dword v[19:20], v2, off
	;; [unrolled: 1-line block ×6, first 2 shown]
	global_load_dword v19, v[7:8], off
	global_load_dword v20, v[31:32], off
	;; [unrolled: 1-line block ×4, first 2 shown]
	v_mul_f32_e32 v25, v39, v51
	v_mov_b32_e32 v3, v6
	v_mul_f32_e32 v6, v42, v50
	v_mov_b32_e32 v2, v15
	v_add_co_u32 v15, vcc_lo, s22, v29
	v_fmac_f32_e32 v25, v40, v50
	v_fma_f32 v6, -v43, v51, v6
	v_add_co_ci_u32_e64 v16, null, s23, v30, vcc_lo
	global_store_dword v[11:12], v25, off
	global_store_dword v[9:10], v6, off
	v_mul_f32_e32 v26, v25, v25
	s_waitcnt vmcnt(5)
	v_fmac_f32_e32 v26, v53, v53
	v_mul_f32_e32 v6, 0x4f800000, v26
	v_cmp_gt_f32_e32 vcc_lo, 0xf800000, v26
	v_cndmask_b32_e32 v6, v26, v6, vcc_lo
	v_sqrt_f32_e32 v9, v6
	v_add_nc_u32_e32 v10, -1, v9
	v_add_nc_u32_e32 v11, 1, v9
	v_fma_f32 v12, -v10, v9, v6
	v_fma_f32 v26, -v11, v9, v6
	v_cmp_ge_f32_e64 s0, 0, v12
	v_cndmask_b32_e64 v9, v9, v10, s0
	v_cmp_lt_f32_e64 s0, 0, v26
	v_cndmask_b32_e64 v9, v9, v11, s0
	v_mul_f32_e32 v10, 0x37800000, v9
	v_cndmask_b32_e32 v9, v9, v10, vcc_lo
	v_cmp_class_f32_e64 vcc_lo, v6, 0x260
	v_cndmask_b32_e32 v6, v9, v6, vcc_lo
	v_div_scale_f32 v9, null, v6, v6, v53
	v_div_scale_f32 v11, null, v6, v6, v25
	v_div_scale_f32 v10, vcc_lo, v53, v6, v53
	v_rcp_f32_e32 v26, v9
	v_rcp_f32_e32 v29, v11
	v_div_scale_f32 v12, s0, v25, v6, v25
	v_fma_f32 v30, -v9, v26, 1.0
	v_fma_f32 v39, -v11, v29, 1.0
	v_fmac_f32_e32 v26, v30, v26
	v_fmac_f32_e32 v29, v39, v29
	v_mul_f32_e32 v30, v10, v26
	v_mul_f32_e32 v39, v12, v29
	v_fma_f32 v40, -v9, v30, v10
	v_fma_f32 v42, -v11, v39, v12
	v_fmac_f32_e32 v30, v40, v26
	v_fmac_f32_e32 v39, v42, v29
	v_fma_f32 v9, -v9, v30, v10
	v_fma_f32 v10, -v11, v39, v12
	v_div_fmas_f32 v9, v9, v26, v30
	s_mov_b32 vcc_lo, s0
	v_div_fmas_f32 v10, v10, v29, v39
	v_div_fixup_f32 v9, v9, v6, v53
	v_div_fixup_f32 v6, v10, v6, v25
	v_mul_f32_e32 v10, v52, v9
	v_mul_f32_e32 v11, v41, v9
	;; [unrolled: 1-line block ×6, first 2 shown]
	s_waitcnt vmcnt(3)
	v_mul_f32_e32 v29, v9, v19
	v_mul_f32_e32 v40, v45, v6
	;; [unrolled: 1-line block ×4, first 2 shown]
	v_fmac_f32_e32 v25, v53, v9
	s_waitcnt vmcnt(2)
	v_fma_f32 v10, -v20, v6, v10
	v_fmac_f32_e32 v30, v20, v9
	s_waitcnt vmcnt(1)
	v_fma_f32 v11, -v23, v6, v11
	v_fmac_f32_e32 v39, v23, v9
	v_mul_f32_e32 v26, v46, v9
	v_fma_f32 v12, -v44, v6, v12
	s_waitcnt vmcnt(0)
	v_fma_f32 v6, -v24, v6, v29
	v_fmac_f32_e32 v40, v44, v9
	global_store_dword v[15:16], v41, off
	v_fmac_f32_e32 v19, v24, v9
	global_store_dword v[27:28], v25, off
	global_store_dword v[13:14], v10, off
	;; [unrolled: 1-line block ×10, first 2 shown]
	s_cbranch_scc0 .LBB2_3
.LBB2_4:
	s_add_i32 s0, s16, -1
	s_mul_i32 s4, s18, s0
	v_add_nc_u32_e32 v2, s4, v1
	s_sub_i32 s5, s4, s18
	v_add_nc_u32_e32 v4, s5, v1
	s_sub_i32 s5, s5, s18
	v_ashrrev_i32_e32 v3, 31, v2
	v_ashrrev_i32_e32 v5, 31, v4
	v_lshlrev_b64 v[2:3], 2, v[2:3]
	v_lshlrev_b64 v[4:5], 2, v[4:5]
	s_waitcnt lgkmcnt(0)
	v_add_co_u32 v6, vcc_lo, s8, v2
	v_add_co_ci_u32_e64 v7, null, s9, v3, vcc_lo
	v_add_co_u32 v8, vcc_lo, s10, v4
	v_add_co_ci_u32_e64 v9, null, s11, v5, vcc_lo
	global_load_dword v18, v[6:7], off
	global_load_dword v19, v[8:9], off
	v_add_co_u32 v6, vcc_lo, s10, v2
	v_add_co_ci_u32_e64 v7, null, s11, v3, vcc_lo
	v_add_co_u32 v10, vcc_lo, s2, v2
	v_add_co_ci_u32_e64 v11, null, s3, v3, vcc_lo
	v_add_co_u32 v12, vcc_lo, s12, v4
	v_add_co_ci_u32_e64 v13, null, s13, v5, vcc_lo
	v_add_co_u32 v14, vcc_lo, s2, v4
	v_add_co_ci_u32_e64 v15, null, s3, v5, vcc_lo
	global_load_dword v20, v[6:7], off
	global_load_dword v21, v[10:11], off
	;; [unrolled: 1-line block ×4, first 2 shown]
	v_add_co_u32 v16, vcc_lo, s12, v2
	v_add_co_ci_u32_e64 v17, null, s13, v3, vcc_lo
	v_add_co_u32 v4, vcc_lo, s14, v4
	v_add_co_ci_u32_e64 v5, null, s15, v5, vcc_lo
	global_load_dword v25, v[16:17], off
	global_load_dword v27, v[4:5], off
	s_waitcnt vmcnt(7)
	v_mul_f32_e32 v24, v18, v18
	s_waitcnt vmcnt(6)
	v_fmac_f32_e32 v24, v19, v19
	v_mul_f32_e32 v26, 0x4f800000, v24
	v_cmp_gt_f32_e32 vcc_lo, 0xf800000, v24
	v_cndmask_b32_e32 v24, v24, v26, vcc_lo
	v_sqrt_f32_e32 v26, v24
	v_add_nc_u32_e32 v28, -1, v26
	v_add_nc_u32_e32 v29, 1, v26
	v_fma_f32 v30, -v28, v26, v24
	v_fma_f32 v31, -v29, v26, v24
	v_cmp_ge_f32_e64 s0, 0, v30
	v_cndmask_b32_e64 v26, v26, v28, s0
	v_cmp_lt_f32_e64 s0, 0, v31
	v_cndmask_b32_e64 v26, v26, v29, s0
	v_mul_f32_e32 v28, 0x37800000, v26
	v_cndmask_b32_e32 v26, v26, v28, vcc_lo
	v_cmp_class_f32_e64 vcc_lo, v24, 0x260
	v_cndmask_b32_e32 v24, v26, v24, vcc_lo
	v_div_scale_f32 v26, null, v24, v24, v19
	v_div_scale_f32 v28, null, v24, v24, v18
	v_div_scale_f32 v33, vcc_lo, v19, v24, v19
	v_rcp_f32_e32 v29, v26
	v_rcp_f32_e32 v30, v28
	v_fma_f32 v31, -v26, v29, 1.0
	v_fma_f32 v32, -v28, v30, 1.0
	v_fmac_f32_e32 v29, v31, v29
	v_div_scale_f32 v31, s0, v18, v24, v18
	v_fmac_f32_e32 v30, v32, v30
	v_mul_f32_e32 v32, v33, v29
	v_mul_f32_e32 v34, v31, v30
	v_fma_f32 v35, -v26, v32, v33
	v_fma_f32 v36, -v28, v34, v31
	v_fmac_f32_e32 v32, v35, v29
	v_fmac_f32_e32 v34, v36, v30
	v_fma_f32 v26, -v26, v32, v33
	v_fma_f32 v28, -v28, v34, v31
	v_div_fmas_f32 v26, v26, v29, v32
	s_mov_b32 vcc_lo, s0
	v_add_co_u32 v2, s0, s14, v2
	v_div_fmas_f32 v28, v28, v30, v34
	v_div_fixup_f32 v29, v26, v24, v19
	v_add_co_ci_u32_e64 v3, null, s15, v3, s0
	v_div_fixup_f32 v28, v28, v24, v18
	s_waitcnt vmcnt(5)
	v_mul_f32_e32 v24, v20, v29
	s_waitcnt vmcnt(4)
	v_mul_f32_e32 v26, v29, v21
	;; [unrolled: 2-line block ×3, first 2 shown]
	v_mul_f32_e32 v18, v18, v28
	v_fma_f32 v24, -v22, v28, v24
	v_fma_f32 v26, -v23, v28, v26
	v_mul_f32_e32 v20, v20, v28
	v_mul_f32_e32 v21, v28, v21
	v_fmac_f32_e32 v18, v19, v29
	v_div_scale_f32 v30, null, v24, v24, v26
	v_div_scale_f32 v33, vcc_lo, v26, v24, v26
	v_fmac_f32_e32 v20, v22, v29
	v_rcp_f32_e32 v31, v30
	v_fmac_f32_e32 v21, v23, v29
	v_fma_f32 v32, -v30, v31, 1.0
	v_fmac_f32_e32 v31, v32, v31
	v_mul_f32_e32 v32, v33, v31
	v_fma_f32 v34, -v30, v32, v33
	v_fmac_f32_e32 v32, v34, v31
	global_load_dword v34, v[2:3], off
	s_waitcnt vmcnt(1)
	v_fma_f32 v22, -v27, v28, v35
	global_store_dword v[12:13], v20, off
	global_store_dword v[16:17], v22, off
	global_store_dword v[14:15], v21, off
	v_fma_f32 v30, -v30, v32, v33
	global_load_dword v16, v[12:13], off
	v_mul_f32_e32 v35, v25, v28
	v_div_fmas_f32 v30, v30, v31, v32
	v_fmac_f32_e32 v35, v27, v29
	v_div_fixup_f32 v19, v30, v24, v26
	global_store_dword v[10:11], v19, off
	global_load_dword v17, v[14:15], off
	global_store_dword v[8:9], v18, off
	global_store_dword v[6:7], v24, off
	global_load_dword v9, v[8:9], off
	v_mad_u64_u32 v[6:7], null, s17, s6, v[1:2]
	v_add_nc_u32_e32 v18, s5, v1
	v_ashrrev_i32_e32 v7, 31, v6
	v_lshlrev_b64 v[7:8], 2, v[6:7]
	v_add_co_u32 v12, vcc_lo, s20, v7
	v_add_co_ci_u32_e64 v13, null, s21, v8, vcc_lo
	global_load_dword v30, v[12:13], off
	s_waitcnt vmcnt(4)
	v_mul_f32_e32 v27, v28, v34
	s_waitcnt vmcnt(2)
	v_fma_f32 v31, -v19, v16, v17
	v_add_nc_u32_e32 v16, s17, v6
	v_ashrrev_i32_e32 v19, 31, v18
	s_waitcnt vmcnt(1)
	v_div_scale_f32 v26, null, v9, v9, v31
	v_div_scale_f32 v33, vcc_lo, v31, v9, v31
	v_ashrrev_i32_e32 v17, 31, v16
	v_rcp_f32_e32 v32, v26
	v_lshlrev_b64 v[20:21], 2, v[16:17]
	v_lshlrev_b64 v[17:18], 2, v[18:19]
	v_fma_f32 v6, -v26, v32, 1.0
	v_add_co_u32 v19, s0, s20, v20
	v_add_co_ci_u32_e64 v20, null, s21, v21, s0
	v_fmac_f32_e32 v32, v6, v32
	v_add_co_u32 v21, s0, s2, v17
	v_add_co_ci_u32_e64 v22, null, s3, v18, s0
	v_mul_f32_e32 v6, v33, v32
	v_fma_f32 v23, -v26, v6, v33
	v_fmac_f32_e32 v6, v23, v32
	v_add_co_u32 v23, s0, s12, v17
	v_add_co_ci_u32_e64 v24, null, s13, v18, s0
	v_fma_f32 v26, -v26, v6, v33
	v_mul_f32_e32 v33, v29, v34
	s_sub_i32 s0, s5, s18
	global_load_dword v23, v[23:24], off
	v_add_nc_u32_e32 v1, s0, v1
	v_div_fmas_f32 v6, v26, v32, v6
	v_add_co_u32 v25, vcc_lo, s14, v17
	v_add_co_ci_u32_e64 v26, null, s15, v18, vcc_lo
	v_div_fixup_f32 v6, v6, v9, v31
	global_load_dword v9, v[19:20], off
	s_waitcnt vmcnt(2)
	v_fma_f32 v31, -v30, v28, v33
	v_add_co_u32 v17, vcc_lo, s10, v17
	global_store_dword v[14:15], v6, off
	global_load_dword v24, v[21:22], off
	v_add_co_ci_u32_e64 v18, null, s11, v18, vcc_lo
	global_store_dword v[4:5], v35, off
	global_store_dword v[2:3], v31, off
	global_load_dword v2, v[25:26], off
	global_load_dword v3, v[10:11], off
	;; [unrolled: 1-line block ×3, first 2 shown]
	v_fmac_f32_e32 v27, v30, v29
	s_cmp_lt_i32 s16, 5
	s_waitcnt vmcnt(3)
	v_fma_f32 v4, -v6, v23, v24
	s_waitcnt vmcnt(1)
	v_fma_f32 v25, -v2, v3, v4
	s_waitcnt vmcnt(0)
	v_div_scale_f32 v17, null, v18, v18, v25
	v_div_scale_f32 v24, vcc_lo, v25, v18, v25
	v_rcp_f32_e32 v23, v17
	v_mad_u64_u32 v[3:4], null, s17, -3, v[16:17]
	v_ashrrev_i32_e32 v4, 31, v3
	v_fma_f32 v2, -v17, v23, 1.0
	v_lshlrev_b64 v[3:4], 2, v[3:4]
	v_fmac_f32_e32 v23, v2, v23
	v_ashrrev_i32_e32 v2, 31, v1
	v_mul_f32_e32 v26, v24, v23
	v_lshlrev_b64 v[1:2], 2, v[1:2]
	v_fma_f32 v5, -v17, v26, v24
	v_fmac_f32_e32 v26, v5, v23
	v_add_co_u32 v5, s0, s2, v1
	v_add_co_ci_u32_e64 v6, null, s3, v2, s0
	v_fma_f32 v24, -v17, v26, v24
	v_add_co_u32 v16, s0, s12, v1
	v_add_co_ci_u32_e64 v17, null, s13, v2, s0
	v_div_fmas_f32 v26, v24, v23, v26
	v_add_co_u32 v23, vcc_lo, s14, v1
	v_add_co_ci_u32_e64 v24, null, s15, v2, vcc_lo
	v_div_fixup_f32 v18, v26, v18, v25
	global_load_dword v16, v[16:17], off
	v_add_co_u32 v3, vcc_lo, s20, v3
	v_add_co_ci_u32_e64 v4, null, s21, v4, vcc_lo
	global_store_dword v[21:22], v18, off
	global_load_dword v17, v[5:6], off
	global_load_dword v21, v[23:24], off
	;; [unrolled: 1-line block ×3, first 2 shown]
	v_mul_f32_e32 v25, v29, v9
	v_add_co_u32 v1, vcc_lo, s10, v1
	v_add_co_ci_u32_e64 v2, null, s11, v2, vcc_lo
	global_store_dword v[12:13], v27, off
	global_store_dword v[19:20], v25, off
	global_load_dword v3, v[3:4], off
	global_load_dword v4, v[10:11], off
	;; [unrolled: 1-line block ×3, first 2 shown]
	s_waitcnt vmcnt(5)
	v_fma_f32 v1, -v18, v16, v17
	s_waitcnt vmcnt(3)
	v_fma_f32 v1, -v21, v14, v1
	;; [unrolled: 2-line block ×3, first 2 shown]
	s_waitcnt vmcnt(0)
	v_div_scale_f32 v1, null, v10, v10, v3
	v_rcp_f32_e32 v2, v1
	v_fma_f32 v4, -v1, v2, 1.0
	v_fmac_f32_e32 v2, v4, v2
	v_div_scale_f32 v4, vcc_lo, v3, v10, v3
	v_mul_f32_e32 v11, v4, v2
	v_fma_f32 v12, -v1, v11, v4
	v_fmac_f32_e32 v11, v12, v2
	v_fma_f32 v1, -v1, v11, v4
	v_mul_f32_e32 v4, v28, v9
	v_div_fmas_f32 v9, v1, v2, v11
	v_add_co_u32 v1, vcc_lo, s22, v7
	v_add_co_ci_u32_e64 v2, null, s23, v8, vcc_lo
	v_div_fixup_f32 v3, v9, v10, v3
	global_store_dword v[1:2], v4, off
	global_store_dword v[5:6], v3, off
	s_cbranch_scc1 .LBB2_7
; %bb.5:
	s_add_i32 s5, s16, -5
	s_add_i32 s0, s16, -4
	v_mad_u64_u32 v[1:2], null, s17, s5, v[0:1]
	s_add_i32 s7, s16, -3
	v_mad_u64_u32 v[2:3], null, s18, s0, v[0:1]
	v_mad_u64_u32 v[3:4], null, s18, s7, v[0:1]
	;; [unrolled: 1-line block ×4, first 2 shown]
	v_add_nc_u32_e32 v0, s4, v0
.LBB2_6:                                ; =>This Inner Loop Header: Depth=1
	v_add_nc_u32_e32 v6, s1, v5
	v_add_nc_u32_e32 v8, s1, v2
	;; [unrolled: 1-line block ×5, first 2 shown]
	v_ashrrev_i32_e32 v7, 31, v6
	v_ashrrev_i32_e32 v9, 31, v8
	;; [unrolled: 1-line block ×4, first 2 shown]
	v_add_nc_u32_e32 v16, s1, v0
	v_lshlrev_b64 v[6:7], 2, v[6:7]
	v_lshlrev_b64 v[8:9], 2, v[8:9]
	v_ashrrev_i32_e32 v15, 31, v14
	v_lshlrev_b64 v[10:11], 2, v[10:11]
	v_lshlrev_b64 v[12:13], 2, v[12:13]
	v_ashrrev_i32_e32 v17, 31, v16
	v_add_co_u32 v18, vcc_lo, s2, v6
	v_add_co_ci_u32_e64 v19, null, s3, v7, vcc_lo
	v_add_co_u32 v20, vcc_lo, s12, v6
	v_add_co_ci_u32_e64 v21, null, s13, v7, vcc_lo
	v_add_co_u32 v8, vcc_lo, s2, v8
	v_lshlrev_b64 v[14:15], 2, v[14:15]
	v_add_co_ci_u32_e64 v9, null, s3, v9, vcc_lo
	v_add_co_u32 v22, vcc_lo, s14, v6
	v_add_co_ci_u32_e64 v23, null, s15, v7, vcc_lo
	v_add_co_u32 v10, vcc_lo, s2, v10
	v_lshlrev_b64 v[16:17], 2, v[16:17]
	v_add_co_ci_u32_e64 v11, null, s3, v11, vcc_lo
	v_add_co_u32 v24, vcc_lo, s20, v12
	global_load_dword v26, v[18:19], off
	global_load_dword v20, v[20:21], off
	;; [unrolled: 1-line block ×3, first 2 shown]
	v_add_co_ci_u32_e64 v25, null, s21, v13, vcc_lo
	v_add_co_u32 v14, vcc_lo, s2, v14
	v_add_co_ci_u32_e64 v15, null, s3, v15, vcc_lo
	v_add_co_u32 v12, vcc_lo, s22, v12
	;; [unrolled: 2-line block ×3, first 2 shown]
	global_load_dword v16, v[22:23], off
	global_load_dword v10, v[10:11], off
	;; [unrolled: 1-line block ×4, first 2 shown]
	v_add_co_ci_u32_e64 v9, null, s3, v17, vcc_lo
	v_add_co_u32 v6, vcc_lo, s10, v6
	v_add_co_ci_u32_e64 v7, null, s11, v7, vcc_lo
	global_load_dword v12, v[12:13], off
	global_load_dword v8, v[8:9], off
	;; [unrolled: 1-line block ×3, first 2 shown]
	v_subrev_nc_u32_e32 v1, s17, v1
	v_subrev_nc_u32_e32 v2, s18, v2
	;; [unrolled: 1-line block ×6, first 2 shown]
	s_add_i32 s0, s0, -1
	s_cmp_lg_u32 s0, 0
	s_waitcnt vmcnt(7)
	v_fma_f32 v7, -v20, v21, v26
	s_waitcnt vmcnt(5)
	v_fma_f32 v7, -v16, v10, v7
	;; [unrolled: 2-line block ×4, first 2 shown]
	s_waitcnt vmcnt(0)
	v_div_scale_f32 v8, null, v6, v6, v7
	v_div_scale_f32 v11, vcc_lo, v7, v6, v7
	v_rcp_f32_e32 v9, v8
	v_fma_f32 v10, -v8, v9, 1.0
	v_fmac_f32_e32 v9, v10, v9
	v_mul_f32_e32 v10, v11, v9
	v_fma_f32 v12, -v8, v10, v11
	v_fmac_f32_e32 v10, v12, v9
	v_fma_f32 v8, -v8, v10, v11
	v_div_fmas_f32 v8, v8, v9, v10
	v_div_fixup_f32 v6, v8, v6, v7
	global_store_dword v[18:19], v6, off
	s_cbranch_scc1 .LBB2_6
.LBB2_7:
	s_endpgm
	.section	.rodata,"a",@progbits
	.p2align	6, 0x0
	.amdhsa_kernel _ZN9rocsparseL39gpsv_interleaved_batch_givens_qr_kernelILj128EfEEviiiPT0_S2_S2_S2_S2_S2_S2_S2_
		.amdhsa_group_segment_fixed_size 0
		.amdhsa_private_segment_fixed_size 0
		.amdhsa_kernarg_size 80
		.amdhsa_user_sgpr_count 6
		.amdhsa_user_sgpr_private_segment_buffer 1
		.amdhsa_user_sgpr_dispatch_ptr 0
		.amdhsa_user_sgpr_queue_ptr 0
		.amdhsa_user_sgpr_kernarg_segment_ptr 1
		.amdhsa_user_sgpr_dispatch_id 0
		.amdhsa_user_sgpr_flat_scratch_init 0
		.amdhsa_user_sgpr_private_segment_size 0
		.amdhsa_wavefront_size32 1
		.amdhsa_uses_dynamic_stack 0
		.amdhsa_system_sgpr_private_segment_wavefront_offset 0
		.amdhsa_system_sgpr_workgroup_id_x 1
		.amdhsa_system_sgpr_workgroup_id_y 0
		.amdhsa_system_sgpr_workgroup_id_z 0
		.amdhsa_system_sgpr_workgroup_info 0
		.amdhsa_system_vgpr_workitem_id 0
		.amdhsa_next_free_vgpr 54
		.amdhsa_next_free_sgpr 24
		.amdhsa_reserve_vcc 1
		.amdhsa_reserve_flat_scratch 0
		.amdhsa_float_round_mode_32 0
		.amdhsa_float_round_mode_16_64 0
		.amdhsa_float_denorm_mode_32 3
		.amdhsa_float_denorm_mode_16_64 3
		.amdhsa_dx10_clamp 1
		.amdhsa_ieee_mode 1
		.amdhsa_fp16_overflow 0
		.amdhsa_workgroup_processor_mode 1
		.amdhsa_memory_ordered 1
		.amdhsa_forward_progress 1
		.amdhsa_shared_vgpr_count 0
		.amdhsa_exception_fp_ieee_invalid_op 0
		.amdhsa_exception_fp_denorm_src 0
		.amdhsa_exception_fp_ieee_div_zero 0
		.amdhsa_exception_fp_ieee_overflow 0
		.amdhsa_exception_fp_ieee_underflow 0
		.amdhsa_exception_fp_ieee_inexact 0
		.amdhsa_exception_int_div_zero 0
	.end_amdhsa_kernel
	.section	.text._ZN9rocsparseL39gpsv_interleaved_batch_givens_qr_kernelILj128EfEEviiiPT0_S2_S2_S2_S2_S2_S2_S2_,"axG",@progbits,_ZN9rocsparseL39gpsv_interleaved_batch_givens_qr_kernelILj128EfEEviiiPT0_S2_S2_S2_S2_S2_S2_S2_,comdat
.Lfunc_end2:
	.size	_ZN9rocsparseL39gpsv_interleaved_batch_givens_qr_kernelILj128EfEEviiiPT0_S2_S2_S2_S2_S2_S2_S2_, .Lfunc_end2-_ZN9rocsparseL39gpsv_interleaved_batch_givens_qr_kernelILj128EfEEviiiPT0_S2_S2_S2_S2_S2_S2_S2_
                                        ; -- End function
	.set _ZN9rocsparseL39gpsv_interleaved_batch_givens_qr_kernelILj128EfEEviiiPT0_S2_S2_S2_S2_S2_S2_S2_.num_vgpr, 54
	.set _ZN9rocsparseL39gpsv_interleaved_batch_givens_qr_kernelILj128EfEEviiiPT0_S2_S2_S2_S2_S2_S2_S2_.num_agpr, 0
	.set _ZN9rocsparseL39gpsv_interleaved_batch_givens_qr_kernelILj128EfEEviiiPT0_S2_S2_S2_S2_S2_S2_S2_.numbered_sgpr, 24
	.set _ZN9rocsparseL39gpsv_interleaved_batch_givens_qr_kernelILj128EfEEviiiPT0_S2_S2_S2_S2_S2_S2_S2_.num_named_barrier, 0
	.set _ZN9rocsparseL39gpsv_interleaved_batch_givens_qr_kernelILj128EfEEviiiPT0_S2_S2_S2_S2_S2_S2_S2_.private_seg_size, 0
	.set _ZN9rocsparseL39gpsv_interleaved_batch_givens_qr_kernelILj128EfEEviiiPT0_S2_S2_S2_S2_S2_S2_S2_.uses_vcc, 1
	.set _ZN9rocsparseL39gpsv_interleaved_batch_givens_qr_kernelILj128EfEEviiiPT0_S2_S2_S2_S2_S2_S2_S2_.uses_flat_scratch, 0
	.set _ZN9rocsparseL39gpsv_interleaved_batch_givens_qr_kernelILj128EfEEviiiPT0_S2_S2_S2_S2_S2_S2_S2_.has_dyn_sized_stack, 0
	.set _ZN9rocsparseL39gpsv_interleaved_batch_givens_qr_kernelILj128EfEEviiiPT0_S2_S2_S2_S2_S2_S2_S2_.has_recursion, 0
	.set _ZN9rocsparseL39gpsv_interleaved_batch_givens_qr_kernelILj128EfEEviiiPT0_S2_S2_S2_S2_S2_S2_S2_.has_indirect_call, 0
	.section	.AMDGPU.csdata,"",@progbits
; Kernel info:
; codeLenInByte = 3704
; TotalNumSgprs: 26
; NumVgprs: 54
; ScratchSize: 0
; MemoryBound: 0
; FloatMode: 240
; IeeeMode: 1
; LDSByteSize: 0 bytes/workgroup (compile time only)
; SGPRBlocks: 0
; VGPRBlocks: 6
; NumSGPRsForWavesPerEU: 26
; NumVGPRsForWavesPerEU: 54
; Occupancy: 16
; WaveLimiterHint : 0
; COMPUTE_PGM_RSRC2:SCRATCH_EN: 0
; COMPUTE_PGM_RSRC2:USER_SGPR: 6
; COMPUTE_PGM_RSRC2:TRAP_HANDLER: 0
; COMPUTE_PGM_RSRC2:TGID_X_EN: 1
; COMPUTE_PGM_RSRC2:TGID_Y_EN: 0
; COMPUTE_PGM_RSRC2:TGID_Z_EN: 0
; COMPUTE_PGM_RSRC2:TIDIG_COMP_CNT: 0
	.section	.text._ZN9rocsparseL19gpsv_strided_gatherILj256EdEEviiiPKT0_PS1_,"axG",@progbits,_ZN9rocsparseL19gpsv_strided_gatherILj256EdEEviiiPKT0_PS1_,comdat
	.globl	_ZN9rocsparseL19gpsv_strided_gatherILj256EdEEviiiPKT0_PS1_ ; -- Begin function _ZN9rocsparseL19gpsv_strided_gatherILj256EdEEviiiPKT0_PS1_
	.p2align	8
	.type	_ZN9rocsparseL19gpsv_strided_gatherILj256EdEEviiiPKT0_PS1_,@function
_ZN9rocsparseL19gpsv_strided_gatherILj256EdEEviiiPKT0_PS1_: ; @_ZN9rocsparseL19gpsv_strided_gatherILj256EdEEviiiPKT0_PS1_
; %bb.0:
	s_clause 0x1
	s_load_dword s7, s[4:5], 0x2c
	s_load_dwordx4 s[0:3], s[4:5], 0x0
	s_waitcnt lgkmcnt(0)
	s_and_b32 s3, s7, 0xffff
	s_cmp_gt_i32 s0, 0
	v_mad_u64_u32 v[0:1], null, s6, s3, v[0:1]
	s_cselect_b32 s3, -1, 0
	v_cmp_gt_i32_e32 vcc_lo, s1, v0
	s_and_b32 s3, vcc_lo, s3
	s_and_saveexec_b32 s6, s3
	s_cbranch_execz .LBB3_3
; %bb.1:
	s_load_dwordx4 s[4:7], s[4:5], 0x10
	v_mov_b32_e32 v2, v0
	.p2align	6
.LBB3_2:                                ; =>This Inner Loop Header: Depth=1
	v_ashrrev_i32_e32 v1, 31, v0
	s_add_i32 s0, s0, -1
	s_cmp_lg_u32 s0, 0
	v_lshlrev_b64 v[3:4], 3, v[0:1]
	v_add_nc_u32_e32 v0, s2, v0
	s_waitcnt lgkmcnt(0)
	v_add_co_u32 v3, vcc_lo, s4, v3
	v_add_co_ci_u32_e64 v4, null, s5, v4, vcc_lo
	global_load_dwordx2 v[4:5], v[3:4], off
	v_ashrrev_i32_e32 v3, 31, v2
	v_lshlrev_b64 v[6:7], 3, v[2:3]
	v_add_nc_u32_e32 v2, s1, v2
	v_add_co_u32 v6, vcc_lo, s6, v6
	v_add_co_ci_u32_e64 v7, null, s7, v7, vcc_lo
	s_waitcnt vmcnt(0)
	global_store_dwordx2 v[6:7], v[4:5], off
	s_cbranch_scc1 .LBB3_2
.LBB3_3:
	s_endpgm
	.section	.rodata,"a",@progbits
	.p2align	6, 0x0
	.amdhsa_kernel _ZN9rocsparseL19gpsv_strided_gatherILj256EdEEviiiPKT0_PS1_
		.amdhsa_group_segment_fixed_size 0
		.amdhsa_private_segment_fixed_size 0
		.amdhsa_kernarg_size 288
		.amdhsa_user_sgpr_count 6
		.amdhsa_user_sgpr_private_segment_buffer 1
		.amdhsa_user_sgpr_dispatch_ptr 0
		.amdhsa_user_sgpr_queue_ptr 0
		.amdhsa_user_sgpr_kernarg_segment_ptr 1
		.amdhsa_user_sgpr_dispatch_id 0
		.amdhsa_user_sgpr_flat_scratch_init 0
		.amdhsa_user_sgpr_private_segment_size 0
		.amdhsa_wavefront_size32 1
		.amdhsa_uses_dynamic_stack 0
		.amdhsa_system_sgpr_private_segment_wavefront_offset 0
		.amdhsa_system_sgpr_workgroup_id_x 1
		.amdhsa_system_sgpr_workgroup_id_y 0
		.amdhsa_system_sgpr_workgroup_id_z 0
		.amdhsa_system_sgpr_workgroup_info 0
		.amdhsa_system_vgpr_workitem_id 0
		.amdhsa_next_free_vgpr 8
		.amdhsa_next_free_sgpr 8
		.amdhsa_reserve_vcc 1
		.amdhsa_reserve_flat_scratch 0
		.amdhsa_float_round_mode_32 0
		.amdhsa_float_round_mode_16_64 0
		.amdhsa_float_denorm_mode_32 3
		.amdhsa_float_denorm_mode_16_64 3
		.amdhsa_dx10_clamp 1
		.amdhsa_ieee_mode 1
		.amdhsa_fp16_overflow 0
		.amdhsa_workgroup_processor_mode 1
		.amdhsa_memory_ordered 1
		.amdhsa_forward_progress 1
		.amdhsa_shared_vgpr_count 0
		.amdhsa_exception_fp_ieee_invalid_op 0
		.amdhsa_exception_fp_denorm_src 0
		.amdhsa_exception_fp_ieee_div_zero 0
		.amdhsa_exception_fp_ieee_overflow 0
		.amdhsa_exception_fp_ieee_underflow 0
		.amdhsa_exception_fp_ieee_inexact 0
		.amdhsa_exception_int_div_zero 0
	.end_amdhsa_kernel
	.section	.text._ZN9rocsparseL19gpsv_strided_gatherILj256EdEEviiiPKT0_PS1_,"axG",@progbits,_ZN9rocsparseL19gpsv_strided_gatherILj256EdEEviiiPKT0_PS1_,comdat
.Lfunc_end3:
	.size	_ZN9rocsparseL19gpsv_strided_gatherILj256EdEEviiiPKT0_PS1_, .Lfunc_end3-_ZN9rocsparseL19gpsv_strided_gatherILj256EdEEviiiPKT0_PS1_
                                        ; -- End function
	.set _ZN9rocsparseL19gpsv_strided_gatherILj256EdEEviiiPKT0_PS1_.num_vgpr, 8
	.set _ZN9rocsparseL19gpsv_strided_gatherILj256EdEEviiiPKT0_PS1_.num_agpr, 0
	.set _ZN9rocsparseL19gpsv_strided_gatherILj256EdEEviiiPKT0_PS1_.numbered_sgpr, 8
	.set _ZN9rocsparseL19gpsv_strided_gatherILj256EdEEviiiPKT0_PS1_.num_named_barrier, 0
	.set _ZN9rocsparseL19gpsv_strided_gatherILj256EdEEviiiPKT0_PS1_.private_seg_size, 0
	.set _ZN9rocsparseL19gpsv_strided_gatherILj256EdEEviiiPKT0_PS1_.uses_vcc, 1
	.set _ZN9rocsparseL19gpsv_strided_gatherILj256EdEEviiiPKT0_PS1_.uses_flat_scratch, 0
	.set _ZN9rocsparseL19gpsv_strided_gatherILj256EdEEviiiPKT0_PS1_.has_dyn_sized_stack, 0
	.set _ZN9rocsparseL19gpsv_strided_gatherILj256EdEEviiiPKT0_PS1_.has_recursion, 0
	.set _ZN9rocsparseL19gpsv_strided_gatherILj256EdEEviiiPKT0_PS1_.has_indirect_call, 0
	.section	.AMDGPU.csdata,"",@progbits
; Kernel info:
; codeLenInByte = 232
; TotalNumSgprs: 10
; NumVgprs: 8
; ScratchSize: 0
; MemoryBound: 0
; FloatMode: 240
; IeeeMode: 1
; LDSByteSize: 0 bytes/workgroup (compile time only)
; SGPRBlocks: 0
; VGPRBlocks: 0
; NumSGPRsForWavesPerEU: 10
; NumVGPRsForWavesPerEU: 8
; Occupancy: 16
; WaveLimiterHint : 0
; COMPUTE_PGM_RSRC2:SCRATCH_EN: 0
; COMPUTE_PGM_RSRC2:USER_SGPR: 6
; COMPUTE_PGM_RSRC2:TRAP_HANDLER: 0
; COMPUTE_PGM_RSRC2:TGID_X_EN: 1
; COMPUTE_PGM_RSRC2:TGID_Y_EN: 0
; COMPUTE_PGM_RSRC2:TGID_Z_EN: 0
; COMPUTE_PGM_RSRC2:TIDIG_COMP_CNT: 0
	.section	.text._ZN9rocsparseL44gpsv_interleaved_batch_householder_qr_kernelILj256EdEEviiiPT0_S2_S2_S2_S2_S2_S2_S2_S2_,"axG",@progbits,_ZN9rocsparseL44gpsv_interleaved_batch_householder_qr_kernelILj256EdEEviiiPT0_S2_S2_S2_S2_S2_S2_S2_S2_,comdat
	.globl	_ZN9rocsparseL44gpsv_interleaved_batch_householder_qr_kernelILj256EdEEviiiPT0_S2_S2_S2_S2_S2_S2_S2_S2_ ; -- Begin function _ZN9rocsparseL44gpsv_interleaved_batch_householder_qr_kernelILj256EdEEviiiPT0_S2_S2_S2_S2_S2_S2_S2_S2_
	.p2align	8
	.type	_ZN9rocsparseL44gpsv_interleaved_batch_householder_qr_kernelILj256EdEEviiiPT0_S2_S2_S2_S2_S2_S2_S2_S2_,@function
_ZN9rocsparseL44gpsv_interleaved_batch_householder_qr_kernelILj256EdEEviiiPT0_S2_S2_S2_S2_S2_S2_S2_S2_: ; @_ZN9rocsparseL44gpsv_interleaved_batch_householder_qr_kernelILj256EdEEviiiPT0_S2_S2_S2_S2_S2_S2_S2_S2_
; %bb.0:
	s_clause 0x1
	s_load_dword s0, s[4:5], 0x64
	s_load_dwordx4 s[8:11], s[4:5], 0x0
	s_waitcnt lgkmcnt(0)
	s_and_b32 s0, s0, 0xffff
	s_mul_i32 s11, s6, s0
	s_mov_b32 s0, exec_lo
	v_add_nc_u32_e32 v1, s11, v0
	v_cmpx_gt_i32_e64 s9, v1
	s_cbranch_execz .LBB4_32
; %bb.1:
	s_clause 0x3
	s_load_dwordx2 s[2:3], s[4:5], 0x50
	s_load_dwordx4 s[12:15], s[4:5], 0x40
	s_load_dwordx4 s[16:19], s[4:5], 0x20
	s_load_dwordx2 s[6:7], s[4:5], 0x30
	s_cmp_lt_i32 s8, 2
	s_cbranch_scc1 .LBB4_19
; %bb.2:
	s_load_dwordx2 s[20:21], s[4:5], 0x18
	s_add_i32 s1, s8, -2
	s_mov_b32 s0, 0
	s_cmp_eq_u32 s1, 0
	s_cbranch_scc1 .LBB4_12
; %bb.3:
	s_load_dwordx2 s[22:23], s[4:5], 0x10
	v_add_nc_u32_e32 v60, s9, v0
	v_lshl_add_u32 v61, s9, 1, v0
	v_lshl_add_u32 v62, s10, 1, v0
	v_add_nc_u32_e32 v63, s10, v0
	v_mov_b32_e32 v64, v0
	v_mov_b32_e32 v65, v0
	s_mov_b32 s24, 0
	s_branch .LBB4_6
.LBB4_4:                                ;   in Loop: Header=BB4_6 Depth=1
	s_or_b32 exec_lo, exec_lo, s0
	v_div_scale_f64 v[58:59], null, v[54:55], v[54:55], v[34:35]
	v_div_scale_f64 v[70:71], null, v[54:55], v[54:55], v[32:33]
	v_fma_f64 v[56:57], v[54:55], v[54:55], v[56:57]
	v_rcp_f64_e32 v[66:67], v[58:59]
	v_fma_f64 v[68:69], -v[58:59], v[66:67], 1.0
	v_fma_f64 v[66:67], v[66:67], v[68:69], v[66:67]
	v_rcp_f64_e32 v[68:69], v[70:71]
	v_fma_f64 v[72:73], -v[58:59], v[66:67], 1.0
	v_fma_f64 v[74:75], -v[70:71], v[68:69], 1.0
	v_fma_f64 v[66:67], v[66:67], v[72:73], v[66:67]
	v_div_scale_f64 v[72:73], vcc_lo, v[34:35], v[54:55], v[34:35]
	v_fma_f64 v[68:69], v[68:69], v[74:75], v[68:69]
	v_mul_f64 v[74:75], v[72:73], v[66:67]
	v_fma_f64 v[58:59], -v[58:59], v[74:75], v[72:73]
	v_fma_f64 v[72:73], -v[70:71], v[68:69], 1.0
	v_div_fmas_f64 v[58:59], v[58:59], v[66:67], v[74:75]
	v_fma_f64 v[68:69], v[68:69], v[72:73], v[68:69]
	v_div_scale_f64 v[72:73], s0, v[32:33], v[54:55], v[32:33]
	v_mul_f64 v[66:67], v[54:55], v[54:55]
	s_mov_b32 vcc_lo, s0
	v_div_fixup_f64 v[58:59], v[58:59], v[54:55], v[34:35]
	v_mul_f64 v[74:75], v[72:73], v[68:69]
	v_add_f64 v[66:67], v[66:67], v[66:67]
	v_fma_f64 v[34:35], v[58:59], v[34:35], v[44:45]
	v_fma_f64 v[70:71], -v[70:71], v[74:75], v[72:73]
	v_div_scale_f64 v[72:73], null, v[56:57], v[56:57], v[66:67]
	v_div_fmas_f64 v[68:69], v[70:71], v[68:69], v[74:75]
	v_rcp_f64_e32 v[70:71], v[72:73]
	v_div_fixup_f64 v[54:55], v[68:69], v[54:55], v[32:33]
	v_fma_f64 v[74:75], -v[72:73], v[70:71], 1.0
	v_fma_f64 v[32:33], v[54:55], v[32:33], v[34:35]
	v_fma_f64 v[70:71], v[70:71], v[74:75], v[70:71]
	v_fma_f64 v[74:75], -v[72:73], v[70:71], 1.0
	v_fma_f64 v[70:71], v[70:71], v[74:75], v[70:71]
	v_div_scale_f64 v[74:75], vcc_lo, v[66:67], v[56:57], v[66:67]
	v_mul_f64 v[76:77], v[74:75], v[70:71]
	v_fma_f64 v[72:73], -v[72:73], v[76:77], v[74:75]
	v_div_fmas_f64 v[70:71], v[72:73], v[70:71], v[76:77]
	v_add_nc_u32_e32 v72, s11, v65
	v_ashrrev_i32_e32 v73, 31, v72
	v_lshlrev_b64 v[72:73], 3, v[72:73]
	v_add_co_u32 v74, vcc_lo, s12, v72
	v_add_co_ci_u32_e64 v75, null, s13, v73, vcc_lo
	v_add_co_u32 v52, vcc_lo, s12, v52
	v_add_co_ci_u32_e64 v53, null, s13, v53, vcc_lo
	global_load_dwordx2 v[68:69], v[74:75], off
	v_div_fixup_f64 v[56:57], v[70:71], v[56:57], v[66:67]
	global_load_dwordx2 v[70:71], v[52:53], off
	v_fma_f64 v[32:33], -v[32:33], v[56:57], v[44:45]
	s_waitcnt vmcnt(1)
	v_fma_f64 v[66:67], v[58:59], v[38:39], v[68:69]
	v_fma_f64 v[66:67], v[54:55], v[48:49], v[66:67]
	v_fma_f64 v[68:69], -v[56:57], v[66:67], v[68:69]
	v_mul_f64 v[66:67], v[56:57], v[66:67]
	global_store_dwordx2 v[74:75], v[68:69], off
	v_fma_f64 v[68:69], v[58:59], v[58:59], 1.0
	v_fma_f64 v[38:39], -v[66:67], v[58:59], v[38:39]
	v_fma_f64 v[48:49], -v[66:67], v[54:55], v[48:49]
	v_fma_f64 v[68:69], v[54:55], v[54:55], v[68:69]
	v_div_scale_f64 v[74:75], null, v[68:69], v[68:69], 2.0
	v_rcp_f64_e32 v[76:77], v[74:75]
	v_fma_f64 v[78:79], -v[74:75], v[76:77], 1.0
	v_fma_f64 v[76:77], v[76:77], v[78:79], v[76:77]
	v_fma_f64 v[78:79], -v[74:75], v[76:77], 1.0
	v_fma_f64 v[76:77], v[76:77], v[78:79], v[76:77]
	v_div_scale_f64 v[78:79], vcc_lo, 2.0, v[68:69], 2.0
	v_mul_f64 v[80:81], v[78:79], v[76:77]
	v_fma_f64 v[74:75], -v[74:75], v[80:81], v[78:79]
	v_div_fmas_f64 v[74:75], v[74:75], v[76:77], v[80:81]
	v_add_co_u32 v34, vcc_lo, s18, v46
	v_add_co_ci_u32_e64 v35, null, s19, v47, vcc_lo
	v_add_co_u32 v46, vcc_lo, s6, v46
	v_add_co_ci_u32_e64 v47, null, s7, v47, vcc_lo
	v_add_co_u32 v76, vcc_lo, s14, v72
	v_add_co_ci_u32_e64 v77, null, s15, v73, vcc_lo
	global_load_dwordx2 v[78:79], v[34:35], off
	global_load_dwordx2 v[82:83], v[46:47], off
	v_add_co_u32 v72, vcc_lo, s2, v72
	global_load_dwordx2 v[44:45], v[76:77], off
	v_add_co_ci_u32_e64 v73, null, s3, v73, vcc_lo
	v_div_fixup_f64 v[66:67], v[74:75], v[68:69], 2.0
	global_load_dwordx2 v[68:69], v[72:73], off
	s_waitcnt vmcnt(3)
	v_fma_f64 v[80:81], v[58:59], v[36:37], v[78:79]
	s_waitcnt vmcnt(2)
	v_fma_f64 v[84:85], v[58:59], v[40:41], v[82:83]
	;; [unrolled: 2-line block ×3, first 2 shown]
	v_fma_f64 v[80:81], v[54:55], v[42:43], v[80:81]
	v_fma_f64 v[84:85], v[54:55], v[50:51], v[84:85]
	;; [unrolled: 1-line block ×3, first 2 shown]
	v_fma_f64 v[78:79], -v[80:81], v[56:57], v[78:79]
	v_mul_f64 v[80:81], v[80:81], v[56:57]
	v_fma_f64 v[82:83], -v[56:57], v[84:85], v[82:83]
	v_mul_f64 v[84:85], v[56:57], v[84:85]
	;; [unrolled: 2-line block ×3, first 2 shown]
	s_waitcnt vmcnt(0)
	v_fma_f64 v[70:71], v[58:59], v[28:29], v[68:69]
	v_fma_f64 v[36:37], -v[80:81], v[58:59], v[36:37]
	v_fma_f64 v[42:43], -v[80:81], v[54:55], v[42:43]
	;; [unrolled: 1-line block ×5, first 2 shown]
	v_fma_f64 v[70:71], v[54:55], v[26:27], v[70:71]
	v_fma_f64 v[68:69], -v[66:67], v[70:71], v[68:69]
	v_mul_f64 v[66:67], v[66:67], v[70:71]
	global_load_dwordx2 v[70:71], v[52:53], off
	v_fma_f64 v[28:29], -v[58:59], v[66:67], v[28:29]
	v_fma_f64 v[26:27], -v[54:55], v[66:67], v[26:27]
	s_waitcnt vmcnt(0)
	v_fma_f64 v[56:57], -v[56:57], v[58:59], v[70:71]
	global_store_dwordx2 v[4:5], v[58:59], off
	global_store_dwordx2 v[2:3], v[54:55], off
	;; [unrolled: 1-line block ×17, first 2 shown]
.LBB4_5:                                ;   in Loop: Header=BB4_6 Depth=1
	s_or_b32 exec_lo, exec_lo, s25
	v_add_nc_u32_e32 v60, s9, v60
	v_add_nc_u32_e32 v61, s9, v61
	;; [unrolled: 1-line block ×6, first 2 shown]
	s_add_i32 s24, s24, 1
	s_cmp_eq_u32 s1, s24
	s_cbranch_scc1 .LBB4_11
.LBB4_6:                                ; =>This Inner Loop Header: Depth=1
	v_add_nc_u32_e32 v2, s11, v62
	v_add_nc_u32_e32 v4, s11, v63
	s_mov_b32 s25, exec_lo
	v_ashrrev_i32_e32 v3, 31, v2
	v_ashrrev_i32_e32 v5, 31, v4
	v_lshlrev_b64 v[20:21], 3, v[2:3]
	v_lshlrev_b64 v[10:11], 3, v[4:5]
	s_waitcnt lgkmcnt(0)
	v_add_co_u32 v2, vcc_lo, s22, v20
	v_add_co_ci_u32_e64 v3, null, s23, v21, vcc_lo
	v_add_co_u32 v4, vcc_lo, s20, v10
	v_add_co_ci_u32_e64 v5, null, s21, v11, vcc_lo
	global_load_dwordx2 v[32:33], v[2:3], off
	global_load_dwordx2 v[34:35], v[4:5], off
	s_waitcnt vmcnt(1)
	v_mul_f64 v[6:7], v[32:33], v[32:33]
	s_waitcnt vmcnt(0)
	v_fma_f64 v[56:57], v[34:35], v[34:35], v[6:7]
	v_cmpx_neq_f64_e32 0, v[56:57]
	s_cbranch_execz .LBB4_5
; %bb.7:                                ;   in Loop: Header=BB4_6 Depth=1
	v_add_nc_u32_e32 v6, s11, v64
	v_add_nc_u32_e32 v22, s11, v60
	;; [unrolled: 1-line block ×3, first 2 shown]
	v_ashrrev_i32_e32 v7, 31, v6
	v_ashrrev_i32_e32 v23, 31, v22
	v_ashrrev_i32_e32 v25, 31, v24
	v_lshlrev_b64 v[46:47], 3, v[6:7]
	v_lshlrev_b64 v[52:53], 3, v[22:23]
	;; [unrolled: 1-line block ×3, first 2 shown]
	v_add_co_u32 v6, vcc_lo, s16, v46
	v_add_co_ci_u32_e64 v7, null, s17, v47, vcc_lo
	v_add_co_u32 v8, vcc_lo, s16, v10
	v_add_co_ci_u32_e64 v9, null, s17, v11, vcc_lo
	global_load_dwordx2 v[44:45], v[6:7], off
	v_add_co_u32 v12, vcc_lo, s18, v10
	v_add_co_ci_u32_e64 v13, null, s19, v11, vcc_lo
	v_add_co_u32 v10, vcc_lo, s6, v10
	v_add_co_ci_u32_e64 v11, null, s7, v11, vcc_lo
	;; [unrolled: 2-line block ×8, first 2 shown]
	global_load_dwordx2 v[36:37], v[8:9], off
	global_load_dwordx2 v[40:41], v[12:13], off
	;; [unrolled: 1-line block ×7, first 2 shown]
	s_clause 0x1
	global_load_dwordx2 v[28:29], v[22:23], off
	global_load_dwordx2 v[26:27], v[24:25], off
	s_waitcnt vmcnt(9)
	v_fma_f64 v[54:55], v[44:45], v[44:45], v[56:57]
	v_cmp_nlt_f64_e64 s0, 0, v[44:45]
	v_cmp_gt_f64_e32 vcc_lo, 0x10000000, v[54:55]
	v_cndmask_b32_e64 v58, 0, 0x100, vcc_lo
	v_ldexp_f64 v[54:55], v[54:55], v58
	v_rsq_f64_e32 v[58:59], v[54:55]
	v_mul_f64 v[66:67], v[54:55], v[58:59]
	v_mul_f64 v[58:59], v[58:59], 0.5
	v_fma_f64 v[68:69], -v[58:59], v[66:67], 0.5
	v_fma_f64 v[66:67], v[66:67], v[68:69], v[66:67]
	v_fma_f64 v[58:59], v[58:59], v[68:69], v[58:59]
	v_fma_f64 v[68:69], -v[66:67], v[66:67], v[54:55]
	v_fma_f64 v[66:67], v[68:69], v[58:59], v[66:67]
	v_fma_f64 v[68:69], -v[66:67], v[66:67], v[54:55]
	v_fma_f64 v[58:59], v[68:69], v[58:59], v[66:67]
	v_cndmask_b32_e64 v66, 0, 0xffffff80, vcc_lo
	v_cmp_class_f64_e64 vcc_lo, v[54:55], 0x260
	v_ldexp_f64 v[58:59], v[58:59], v66
	v_cndmask_b32_e32 v59, v59, v55, vcc_lo
	v_cndmask_b32_e32 v58, v58, v54, vcc_lo
                                        ; implicit-def: $vgpr54_vgpr55
	s_and_saveexec_b32 s26, s0
	s_xor_b32 s0, exec_lo, s26
; %bb.8:                                ;   in Loop: Header=BB4_6 Depth=1
	v_add_f64 v[54:55], v[44:45], -v[58:59]
                                        ; implicit-def: $vgpr58_vgpr59
; %bb.9:                                ;   in Loop: Header=BB4_6 Depth=1
	s_andn2_saveexec_b32 s0, s0
	s_cbranch_execz .LBB4_4
; %bb.10:                               ;   in Loop: Header=BB4_6 Depth=1
	v_add_f64 v[54:55], v[44:45], v[58:59]
	s_branch .LBB4_4
.LBB4_11:
	s_mov_b32 s0, s1
.LBB4_12:
	v_mad_u64_u32 v[6:7], null, s0, s10, v[1:2]
	v_add_nc_u32_e32 v2, s10, v6
	v_ashrrev_i32_e32 v3, 31, v2
	v_lshlrev_b64 v[12:13], 3, v[2:3]
	s_waitcnt lgkmcnt(0)
	v_add_co_u32 v2, vcc_lo, s20, v12
	v_add_co_ci_u32_e64 v3, null, s21, v13, vcc_lo
	s_mov_b32 s20, exec_lo
	global_load_dwordx2 v[4:5], v[2:3], off
	s_waitcnt vmcnt(0)
	v_fma_f64 v[30:31], v[4:5], v[4:5], 0
	v_cmpx_neq_f64_e32 0, v[30:31]
	s_cbranch_execz .LBB4_18
; %bb.13:
	v_ashrrev_i32_e32 v7, 31, v6
	v_mad_u64_u32 v[34:35], null, s0, s9, v[1:2]
	v_lshlrev_b64 v[26:27], 3, v[6:7]
	v_add_nc_u32_e32 v14, s9, v34
	v_add_co_u32 v6, vcc_lo, s16, v26
	v_add_co_ci_u32_e64 v7, null, s17, v27, vcc_lo
	v_ashrrev_i32_e32 v15, 31, v14
	v_add_co_u32 v8, vcc_lo, s16, v12
	global_load_dwordx2 v[16:17], v[6:7], off
	v_add_co_ci_u32_e64 v9, null, s17, v13, vcc_lo
	v_lshlrev_b64 v[32:33], 3, v[14:15]
	v_add_co_u32 v10, vcc_lo, s18, v12
	v_add_co_ci_u32_e64 v11, null, s19, v13, vcc_lo
	v_add_co_u32 v14, vcc_lo, s6, v12
	v_add_co_ci_u32_e64 v15, null, s7, v13, vcc_lo
	;; [unrolled: 2-line block ×3, first 2 shown]
	global_load_dwordx2 v[20:21], v[8:9], off
	global_load_dwordx2 v[22:23], v[10:11], off
	;; [unrolled: 1-line block ×4, first 2 shown]
	s_waitcnt vmcnt(4)
	v_fma_f64 v[28:29], v[16:17], v[16:17], v[30:31]
	v_cmp_nlt_f64_e64 s0, 0, v[16:17]
	v_cmp_gt_f64_e32 vcc_lo, 0x10000000, v[28:29]
	v_cndmask_b32_e64 v1, 0, 0x100, vcc_lo
	v_ldexp_f64 v[28:29], v[28:29], v1
	v_cndmask_b32_e64 v1, 0, 0xffffff80, vcc_lo
	v_rsq_f64_e32 v[35:36], v[28:29]
	v_cmp_class_f64_e64 vcc_lo, v[28:29], 0x260
	v_mul_f64 v[37:38], v[28:29], v[35:36]
	v_mul_f64 v[35:36], v[35:36], 0.5
	v_fma_f64 v[39:40], -v[35:36], v[37:38], 0.5
	v_fma_f64 v[37:38], v[37:38], v[39:40], v[37:38]
	v_fma_f64 v[35:36], v[35:36], v[39:40], v[35:36]
	v_fma_f64 v[39:40], -v[37:38], v[37:38], v[28:29]
	v_fma_f64 v[37:38], v[39:40], v[35:36], v[37:38]
	v_fma_f64 v[39:40], -v[37:38], v[37:38], v[28:29]
	v_fma_f64 v[35:36], v[39:40], v[35:36], v[37:38]
	v_ldexp_f64 v[35:36], v[35:36], v1
	v_cndmask_b32_e32 v36, v36, v29, vcc_lo
	v_cndmask_b32_e32 v35, v35, v28, vcc_lo
                                        ; implicit-def: $vgpr28_vgpr29
	s_and_saveexec_b32 s1, s0
	s_xor_b32 s0, exec_lo, s1
; %bb.14:
	v_add_f64 v[28:29], v[16:17], -v[35:36]
                                        ; implicit-def: $vgpr35_vgpr36
; %bb.15:
	s_andn2_saveexec_b32 s0, s0
; %bb.16:
	v_add_f64 v[28:29], v[16:17], v[35:36]
; %bb.17:
	s_or_b32 exec_lo, exec_lo, s0
	v_ashrrev_i32_e32 v35, 31, v34
	v_mul_f64 v[40:41], v[28:29], v[28:29]
	v_div_scale_f64 v[42:43], null, v[28:29], v[28:29], v[4:5]
	v_div_scale_f64 v[44:45], null, v[28:29], v[28:29], 0
	v_lshlrev_b64 v[34:35], 3, v[34:35]
	v_fma_f64 v[30:31], v[28:29], v[28:29], v[30:31]
	v_add_co_u32 v36, vcc_lo, s12, v34
	v_add_co_ci_u32_e64 v37, null, s13, v35, vcc_lo
	global_load_dwordx2 v[38:39], v[36:37], off
	v_add_f64 v[40:41], v[40:41], v[40:41]
	v_rcp_f64_e32 v[46:47], v[42:43]
	v_rcp_f64_e32 v[48:49], v[44:45]
	v_div_scale_f64 v[50:51], null, v[30:31], v[30:31], v[40:41]
	v_div_scale_f64 v[64:65], s1, v[40:41], v[30:31], v[40:41]
	v_fma_f64 v[52:53], -v[42:43], v[46:47], 1.0
	v_fma_f64 v[54:55], -v[44:45], v[48:49], 1.0
	v_rcp_f64_e32 v[56:57], v[50:51]
	v_fma_f64 v[46:47], v[46:47], v[52:53], v[46:47]
	v_fma_f64 v[48:49], v[48:49], v[54:55], v[48:49]
	v_fma_f64 v[52:53], -v[50:51], v[56:57], 1.0
	v_fma_f64 v[54:55], -v[42:43], v[46:47], 1.0
	;; [unrolled: 1-line block ×3, first 2 shown]
	v_fma_f64 v[52:53], v[56:57], v[52:53], v[56:57]
	v_div_scale_f64 v[56:57], vcc_lo, v[4:5], v[28:29], v[4:5]
	v_fma_f64 v[46:47], v[46:47], v[54:55], v[46:47]
	v_div_scale_f64 v[54:55], s0, 0, v[28:29], 0
	v_fma_f64 v[48:49], v[48:49], v[58:59], v[48:49]
	v_fma_f64 v[58:59], -v[50:51], v[52:53], 1.0
	v_mul_f64 v[60:61], v[56:57], v[46:47]
	v_mul_f64 v[62:63], v[54:55], v[48:49]
	v_fma_f64 v[52:53], v[52:53], v[58:59], v[52:53]
	v_fma_f64 v[42:43], -v[42:43], v[60:61], v[56:57]
	v_fma_f64 v[44:45], -v[44:45], v[62:63], v[54:55]
	v_mul_f64 v[54:55], v[64:65], v[52:53]
	v_div_fmas_f64 v[42:43], v[42:43], v[46:47], v[60:61]
	v_add_co_u32 v32, vcc_lo, s12, v32
	v_add_co_ci_u32_e64 v33, null, s13, v33, vcc_lo
	s_mov_b32 vcc_lo, s0
	v_div_fmas_f64 v[44:45], v[44:45], v[48:49], v[62:63]
	v_add_co_u32 v46, vcc_lo, s18, v26
	v_add_co_ci_u32_e64 v47, null, s19, v27, vcc_lo
	v_add_co_u32 v26, vcc_lo, s6, v26
	v_add_co_ci_u32_e64 v27, null, s7, v27, vcc_lo
	v_fma_f64 v[48:49], -v[50:51], v[54:55], v[64:65]
	v_add_co_u32 v50, vcc_lo, s14, v34
	v_div_fixup_f64 v[42:43], v[42:43], v[28:29], v[4:5]
	v_add_co_ci_u32_e64 v51, null, s15, v35, vcc_lo
	v_add_co_u32 v34, vcc_lo, s2, v34
	v_add_co_ci_u32_e64 v35, null, s3, v35, vcc_lo
	s_mov_b32 vcc_lo, s1
	v_div_fixup_f64 v[28:29], v[44:45], v[28:29], 0
	global_load_dwordx2 v[56:57], v[46:47], off
	global_load_dwordx2 v[58:59], v[26:27], off
	global_load_dwordx2 v[60:61], v[32:33], off
	global_load_dwordx2 v[62:63], v[50:51], off
	global_load_dwordx2 v[64:65], v[34:35], off
	v_div_fmas_f64 v[44:45], v[48:49], v[52:53], v[54:55]
	v_fma_f64 v[4:5], v[42:43], v[4:5], v[16:17]
	v_div_fixup_f64 v[30:31], v[44:45], v[30:31], v[40:41]
	v_fma_f64 v[4:5], v[28:29], 0, v[4:5]
	v_fma_f64 v[4:5], -v[4:5], v[30:31], v[16:17]
	s_waitcnt vmcnt(5)
	v_fma_f64 v[48:49], v[42:43], v[24:25], v[38:39]
	v_fma_f64 v[40:41], v[28:29], 0, v[48:49]
	v_fma_f64 v[38:39], -v[30:31], v[40:41], v[38:39]
	v_mul_f64 v[40:41], v[30:31], v[40:41]
	global_store_dwordx2 v[36:37], v[38:39], off
	global_load_dwordx2 v[36:37], v[32:33], off
	v_fma_f64 v[38:39], v[42:43], v[42:43], 1.0
	v_fma_f64 v[24:25], -v[40:41], v[42:43], v[24:25]
	v_fma_f64 v[38:39], v[28:29], v[28:29], v[38:39]
	v_div_scale_f64 v[44:45], null, v[38:39], v[38:39], 2.0
	v_div_scale_f64 v[54:55], vcc_lo, 2.0, v[38:39], 2.0
	v_rcp_f64_e32 v[48:49], v[44:45]
	v_fma_f64 v[52:53], -v[44:45], v[48:49], 1.0
	v_fma_f64 v[48:49], v[48:49], v[52:53], v[48:49]
	s_waitcnt vmcnt(4)
	v_fma_f64 v[66:67], v[42:43], v[22:23], v[58:59]
	s_waitcnt vmcnt(2)
	;; [unrolled: 2-line block ×3, first 2 shown]
	v_fma_f64 v[68:69], v[42:43], v[18:19], v[64:65]
	v_fma_f64 v[52:53], -v[44:45], v[48:49], 1.0
	v_fma_f64 v[48:49], v[48:49], v[52:53], v[48:49]
	v_mul_f64 v[52:53], v[54:55], v[48:49]
	v_fma_f64 v[44:45], -v[44:45], v[52:53], v[54:55]
	v_fma_f64 v[54:55], v[42:43], v[20:21], v[56:57]
	v_div_fmas_f64 v[44:45], v[44:45], v[48:49], v[52:53]
	v_fma_f64 v[48:49], v[28:29], 0, v[54:55]
	v_fma_f64 v[52:53], v[28:29], 0, v[66:67]
	;; [unrolled: 1-line block ×4, first 2 shown]
	v_div_fixup_f64 v[38:39], v[44:45], v[38:39], 2.0
	v_mul_f64 v[28:29], v[48:49], v[30:31]
	v_mul_f64 v[44:45], v[30:31], v[52:53]
	;; [unrolled: 1-line block ×3, first 2 shown]
	v_fma_f64 v[16:17], -v[48:49], v[30:31], v[56:57]
	v_fma_f64 v[48:49], -v[30:31], v[52:53], v[58:59]
	;; [unrolled: 1-line block ×3, first 2 shown]
	v_mul_f64 v[68:69], v[38:39], v[60:61]
	v_fma_f64 v[20:21], -v[28:29], v[42:43], v[20:21]
	v_fma_f64 v[22:23], -v[44:45], v[42:43], v[22:23]
	;; [unrolled: 1-line block ×4, first 2 shown]
	s_waitcnt vmcnt(0)
	v_fma_f64 v[36:37], -v[66:67], v[42:43], v[36:37]
	global_store_dwordx2 v[2:3], v[42:43], off
	global_store_dwordx2 v[6:7], v[4:5], off
	;; [unrolled: 1-line block ×11, first 2 shown]
.LBB4_18:
	s_or_b32 exec_lo, exec_lo, s20
.LBB4_19:
	s_cmp_lt_i32 s8, 1
	s_cbranch_scc1 .LBB4_32
; %bb.20:
	v_mad_u64_u32 v[1:2], null, s10, s8, v[0:1]
	s_load_dwordx2 s[0:1], s[4:5], 0x38
	s_add_i32 s4, s8, 3
	v_mad_u64_u32 v[2:3], null, s10, s4, v[0:1]
	s_add_i32 s4, s8, 2
	v_mad_u64_u32 v[3:4], null, s10, s4, v[0:1]
	;; [unrolled: 2-line block ×3, first 2 shown]
	s_add_i32 s4, s8, -1
	v_mad_u64_u32 v[5:6], null, s10, s4, v[0:1]
	v_mad_u64_u32 v[6:7], null, s9, s4, v[0:1]
	s_mov_b32 s4, s8
	s_branch .LBB4_22
.LBB4_21:                               ;   in Loop: Header=BB4_22 Depth=1
	s_waitcnt lgkmcnt(0)
	v_add_co_u32 v11, vcc_lo, s2, v11
	v_add_co_ci_u32_e64 v12, null, s3, v12, vcc_lo
	v_lshlrev_b64 v[7:8], 3, v[7:8]
	v_subrev_nc_u32_e32 v1, s10, v1
	v_subrev_nc_u32_e32 v2, s10, v2
	global_load_dwordx2 v[11:12], v[11:12], off
	v_subrev_nc_u32_e32 v3, s10, v3
	v_subrev_nc_u32_e32 v4, s10, v4
	v_add_co_u32 v13, vcc_lo, s16, v7
	v_add_co_ci_u32_e64 v14, null, s17, v8, vcc_lo
	v_subrev_nc_u32_e32 v5, s10, v5
	v_subrev_nc_u32_e32 v6, s9, v6
	s_add_i32 s5, s4, -1
	global_load_dwordx2 v[13:14], v[13:14], off
	s_cmp_gt_u32 s4, 1
	s_mov_b32 s4, s5
	s_waitcnt vmcnt(1)
	v_add_f64 v[9:10], v[11:12], -v[9:10]
	s_waitcnt vmcnt(0)
	v_div_scale_f64 v[11:12], null, v[13:14], v[13:14], v[9:10]
	v_rcp_f64_e32 v[15:16], v[11:12]
	v_fma_f64 v[17:18], -v[11:12], v[15:16], 1.0
	v_fma_f64 v[15:16], v[15:16], v[17:18], v[15:16]
	v_fma_f64 v[17:18], -v[11:12], v[15:16], 1.0
	v_fma_f64 v[15:16], v[15:16], v[17:18], v[15:16]
	v_div_scale_f64 v[17:18], vcc_lo, v[9:10], v[13:14], v[9:10]
	v_mul_f64 v[19:20], v[17:18], v[15:16]
	v_fma_f64 v[11:12], -v[11:12], v[19:20], v[17:18]
	v_div_fmas_f64 v[11:12], v[11:12], v[15:16], v[19:20]
	v_add_co_u32 v7, vcc_lo, s0, v7
	v_add_co_ci_u32_e64 v8, null, s1, v8, vcc_lo
	v_div_fixup_f64 v[9:10], v[11:12], v[13:14], v[9:10]
	global_store_dwordx2 v[7:8], v[9:10], off
	s_cbranch_scc0 .LBB4_32
.LBB4_22:                               ; =>This Inner Loop Header: Depth=1
	v_add_nc_u32_e32 v7, s11, v5
	v_mov_b32_e32 v9, 0
	v_mov_b32_e32 v10, 0
	s_cmp_ge_i32 s4, s8
	v_ashrrev_i32_e32 v8, 31, v7
	s_cbranch_scc1 .LBB4_24
; %bb.23:                               ;   in Loop: Header=BB4_22 Depth=1
	v_add_nc_u32_e32 v9, s11, v1
	v_lshlrev_b64 v[11:12], 3, v[7:8]
	v_ashrrev_i32_e32 v10, 31, v9
	s_waitcnt lgkmcnt(0)
	v_add_co_u32 v11, vcc_lo, s18, v11
	v_add_co_ci_u32_e64 v12, null, s19, v12, vcc_lo
	v_lshlrev_b64 v[9:10], 3, v[9:10]
	v_add_co_u32 v9, vcc_lo, s0, v9
	v_add_co_ci_u32_e64 v10, null, s1, v10, vcc_lo
	global_load_dwordx2 v[11:12], v[11:12], off
	global_load_dwordx2 v[9:10], v[9:10], off
	s_waitcnt vmcnt(0)
	v_fma_f64 v[9:10], v[11:12], v[9:10], 0
.LBB4_24:                               ;   in Loop: Header=BB4_22 Depth=1
	s_add_i32 s5, s4, 1
	s_cmp_ge_i32 s5, s8
	s_cbranch_scc1 .LBB4_26
; %bb.25:                               ;   in Loop: Header=BB4_22 Depth=1
	v_add_nc_u32_e32 v11, s11, v4
	v_lshlrev_b64 v[13:14], 3, v[7:8]
	v_ashrrev_i32_e32 v12, 31, v11
	s_waitcnt lgkmcnt(0)
	v_add_co_u32 v13, vcc_lo, s6, v13
	v_add_co_ci_u32_e64 v14, null, s7, v14, vcc_lo
	v_lshlrev_b64 v[11:12], 3, v[11:12]
	v_add_co_u32 v11, vcc_lo, s0, v11
	v_add_co_ci_u32_e64 v12, null, s1, v12, vcc_lo
	global_load_dwordx2 v[13:14], v[13:14], off
	global_load_dwordx2 v[11:12], v[11:12], off
	s_waitcnt vmcnt(0)
	v_fma_f64 v[9:10], v[13:14], v[11:12], v[9:10]
.LBB4_26:                               ;   in Loop: Header=BB4_22 Depth=1
	v_add_nc_u32_e32 v11, s11, v6
	s_add_i32 s5, s5, 1
	s_mov_b32 s20, -1
	s_cmp_lt_i32 s5, s8
	s_cbranch_scc0 .LBB4_29
; %bb.27:                               ;   in Loop: Header=BB4_22 Depth=1
	s_andn2_b32 vcc_lo, exec_lo, s20
	s_cbranch_vccz .LBB4_30
.LBB4_28:                               ;   in Loop: Header=BB4_22 Depth=1
	v_lshlrev_b64 v[11:12], 3, v[11:12]
	s_add_i32 s5, s5, 1
	s_cmp_ge_i32 s5, s8
	s_cbranch_scc1 .LBB4_21
	s_branch .LBB4_31
.LBB4_29:                               ;   in Loop: Header=BB4_22 Depth=1
	v_ashrrev_i32_e32 v12, 31, v11
	s_cbranch_execnz .LBB4_28
.LBB4_30:                               ;   in Loop: Header=BB4_22 Depth=1
	v_add_nc_u32_e32 v13, s11, v3
	v_ashrrev_i32_e32 v12, 31, v11
	v_ashrrev_i32_e32 v14, 31, v13
	v_lshlrev_b64 v[15:16], 3, v[11:12]
	v_lshlrev_b64 v[13:14], 3, v[13:14]
	s_waitcnt lgkmcnt(0)
	v_add_co_u32 v15, vcc_lo, s12, v15
	v_add_co_ci_u32_e64 v16, null, s13, v16, vcc_lo
	v_add_co_u32 v13, vcc_lo, s0, v13
	v_add_co_ci_u32_e64 v14, null, s1, v14, vcc_lo
	global_load_dwordx2 v[15:16], v[15:16], off
	global_load_dwordx2 v[13:14], v[13:14], off
	s_waitcnt vmcnt(0)
	v_fma_f64 v[9:10], v[15:16], v[13:14], v[9:10]
	v_lshlrev_b64 v[11:12], 3, v[11:12]
	s_add_i32 s5, s5, 1
	s_cmp_ge_i32 s5, s8
	s_cbranch_scc1 .LBB4_21
.LBB4_31:                               ;   in Loop: Header=BB4_22 Depth=1
	v_add_nc_u32_e32 v13, s11, v2
	s_waitcnt lgkmcnt(0)
	v_add_co_u32 v15, vcc_lo, s14, v11
	v_add_co_ci_u32_e64 v16, null, s15, v12, vcc_lo
	v_ashrrev_i32_e32 v14, 31, v13
	v_lshlrev_b64 v[13:14], 3, v[13:14]
	v_add_co_u32 v13, vcc_lo, s0, v13
	v_add_co_ci_u32_e64 v14, null, s1, v14, vcc_lo
	global_load_dwordx2 v[15:16], v[15:16], off
	global_load_dwordx2 v[13:14], v[13:14], off
	s_waitcnt vmcnt(0)
	v_fma_f64 v[9:10], v[15:16], v[13:14], v[9:10]
	s_branch .LBB4_21
.LBB4_32:
	s_endpgm
	.section	.rodata,"a",@progbits
	.p2align	6, 0x0
	.amdhsa_kernel _ZN9rocsparseL44gpsv_interleaved_batch_householder_qr_kernelILj256EdEEviiiPT0_S2_S2_S2_S2_S2_S2_S2_S2_
		.amdhsa_group_segment_fixed_size 0
		.amdhsa_private_segment_fixed_size 0
		.amdhsa_kernarg_size 344
		.amdhsa_user_sgpr_count 6
		.amdhsa_user_sgpr_private_segment_buffer 1
		.amdhsa_user_sgpr_dispatch_ptr 0
		.amdhsa_user_sgpr_queue_ptr 0
		.amdhsa_user_sgpr_kernarg_segment_ptr 1
		.amdhsa_user_sgpr_dispatch_id 0
		.amdhsa_user_sgpr_flat_scratch_init 0
		.amdhsa_user_sgpr_private_segment_size 0
		.amdhsa_wavefront_size32 1
		.amdhsa_uses_dynamic_stack 0
		.amdhsa_system_sgpr_private_segment_wavefront_offset 0
		.amdhsa_system_sgpr_workgroup_id_x 1
		.amdhsa_system_sgpr_workgroup_id_y 0
		.amdhsa_system_sgpr_workgroup_id_z 0
		.amdhsa_system_sgpr_workgroup_info 0
		.amdhsa_system_vgpr_workitem_id 0
		.amdhsa_next_free_vgpr 86
		.amdhsa_next_free_sgpr 27
		.amdhsa_reserve_vcc 1
		.amdhsa_reserve_flat_scratch 0
		.amdhsa_float_round_mode_32 0
		.amdhsa_float_round_mode_16_64 0
		.amdhsa_float_denorm_mode_32 3
		.amdhsa_float_denorm_mode_16_64 3
		.amdhsa_dx10_clamp 1
		.amdhsa_ieee_mode 1
		.amdhsa_fp16_overflow 0
		.amdhsa_workgroup_processor_mode 1
		.amdhsa_memory_ordered 1
		.amdhsa_forward_progress 1
		.amdhsa_shared_vgpr_count 0
		.amdhsa_exception_fp_ieee_invalid_op 0
		.amdhsa_exception_fp_denorm_src 0
		.amdhsa_exception_fp_ieee_div_zero 0
		.amdhsa_exception_fp_ieee_overflow 0
		.amdhsa_exception_fp_ieee_underflow 0
		.amdhsa_exception_fp_ieee_inexact 0
		.amdhsa_exception_int_div_zero 0
	.end_amdhsa_kernel
	.section	.text._ZN9rocsparseL44gpsv_interleaved_batch_householder_qr_kernelILj256EdEEviiiPT0_S2_S2_S2_S2_S2_S2_S2_S2_,"axG",@progbits,_ZN9rocsparseL44gpsv_interleaved_batch_householder_qr_kernelILj256EdEEviiiPT0_S2_S2_S2_S2_S2_S2_S2_S2_,comdat
.Lfunc_end4:
	.size	_ZN9rocsparseL44gpsv_interleaved_batch_householder_qr_kernelILj256EdEEviiiPT0_S2_S2_S2_S2_S2_S2_S2_S2_, .Lfunc_end4-_ZN9rocsparseL44gpsv_interleaved_batch_householder_qr_kernelILj256EdEEviiiPT0_S2_S2_S2_S2_S2_S2_S2_S2_
                                        ; -- End function
	.set _ZN9rocsparseL44gpsv_interleaved_batch_householder_qr_kernelILj256EdEEviiiPT0_S2_S2_S2_S2_S2_S2_S2_S2_.num_vgpr, 86
	.set _ZN9rocsparseL44gpsv_interleaved_batch_householder_qr_kernelILj256EdEEviiiPT0_S2_S2_S2_S2_S2_S2_S2_S2_.num_agpr, 0
	.set _ZN9rocsparseL44gpsv_interleaved_batch_householder_qr_kernelILj256EdEEviiiPT0_S2_S2_S2_S2_S2_S2_S2_S2_.numbered_sgpr, 27
	.set _ZN9rocsparseL44gpsv_interleaved_batch_householder_qr_kernelILj256EdEEviiiPT0_S2_S2_S2_S2_S2_S2_S2_S2_.num_named_barrier, 0
	.set _ZN9rocsparseL44gpsv_interleaved_batch_householder_qr_kernelILj256EdEEviiiPT0_S2_S2_S2_S2_S2_S2_S2_S2_.private_seg_size, 0
	.set _ZN9rocsparseL44gpsv_interleaved_batch_householder_qr_kernelILj256EdEEviiiPT0_S2_S2_S2_S2_S2_S2_S2_S2_.uses_vcc, 1
	.set _ZN9rocsparseL44gpsv_interleaved_batch_householder_qr_kernelILj256EdEEviiiPT0_S2_S2_S2_S2_S2_S2_S2_S2_.uses_flat_scratch, 0
	.set _ZN9rocsparseL44gpsv_interleaved_batch_householder_qr_kernelILj256EdEEviiiPT0_S2_S2_S2_S2_S2_S2_S2_S2_.has_dyn_sized_stack, 0
	.set _ZN9rocsparseL44gpsv_interleaved_batch_householder_qr_kernelILj256EdEEviiiPT0_S2_S2_S2_S2_S2_S2_S2_S2_.has_recursion, 0
	.set _ZN9rocsparseL44gpsv_interleaved_batch_householder_qr_kernelILj256EdEEviiiPT0_S2_S2_S2_S2_S2_S2_S2_S2_.has_indirect_call, 0
	.section	.AMDGPU.csdata,"",@progbits
; Kernel info:
; codeLenInByte = 3916
; TotalNumSgprs: 29
; NumVgprs: 86
; ScratchSize: 0
; MemoryBound: 0
; FloatMode: 240
; IeeeMode: 1
; LDSByteSize: 0 bytes/workgroup (compile time only)
; SGPRBlocks: 0
; VGPRBlocks: 10
; NumSGPRsForWavesPerEU: 29
; NumVGPRsForWavesPerEU: 86
; Occupancy: 10
; WaveLimiterHint : 0
; COMPUTE_PGM_RSRC2:SCRATCH_EN: 0
; COMPUTE_PGM_RSRC2:USER_SGPR: 6
; COMPUTE_PGM_RSRC2:TRAP_HANDLER: 0
; COMPUTE_PGM_RSRC2:TGID_X_EN: 1
; COMPUTE_PGM_RSRC2:TGID_Y_EN: 0
; COMPUTE_PGM_RSRC2:TGID_Z_EN: 0
; COMPUTE_PGM_RSRC2:TIDIG_COMP_CNT: 0
	.section	.text._ZN9rocsparseL39gpsv_interleaved_batch_givens_qr_kernelILj128EdEEviiiPT0_S2_S2_S2_S2_S2_S2_S2_,"axG",@progbits,_ZN9rocsparseL39gpsv_interleaved_batch_givens_qr_kernelILj128EdEEviiiPT0_S2_S2_S2_S2_S2_S2_S2_,comdat
	.globl	_ZN9rocsparseL39gpsv_interleaved_batch_givens_qr_kernelILj128EdEEviiiPT0_S2_S2_S2_S2_S2_S2_S2_ ; -- Begin function _ZN9rocsparseL39gpsv_interleaved_batch_givens_qr_kernelILj128EdEEviiiPT0_S2_S2_S2_S2_S2_S2_S2_
	.p2align	8
	.type	_ZN9rocsparseL39gpsv_interleaved_batch_givens_qr_kernelILj128EdEEviiiPT0_S2_S2_S2_S2_S2_S2_S2_,@function
_ZN9rocsparseL39gpsv_interleaved_batch_givens_qr_kernelILj128EdEEviiiPT0_S2_S2_S2_S2_S2_S2_S2_: ; @_ZN9rocsparseL39gpsv_interleaved_batch_givens_qr_kernelILj128EdEEviiiPT0_S2_S2_S2_S2_S2_S2_S2_
; %bb.0:
	s_load_dwordx4 s[16:19], s[4:5], 0x0
	s_lshl_b32 s6, s6, 7
	s_mov_b32 s0, exec_lo
	v_or_b32_e32 v1, s6, v0
	s_waitcnt lgkmcnt(0)
	v_cmpx_gt_i32_e64 s17, v1
	s_cbranch_execz .LBB5_7
; %bb.1:
	s_clause 0x2
	s_load_dwordx2 s[2:3], s[4:5], 0x48
	s_load_dwordx4 s[20:23], s[4:5], 0x38
	s_load_dwordx8 s[8:15], s[4:5], 0x18
	s_add_i32 s7, s16, -2
	s_cmp_lt_i32 s16, 3
	s_cbranch_scc1 .LBB5_4
; %bb.2:
	s_load_dwordx2 s[4:5], s[4:5], 0x10
	v_mov_b32_e32 v3, v1
	v_mov_b32_e32 v2, v1
	s_lshl_b32 s1, s18, 1
	s_mov_b32 s19, s7
.LBB5_3:                                ; =>This Inner Loop Header: Depth=1
	v_ashrrev_i32_e32 v4, 31, v3
	v_add_nc_u32_e32 v5, s1, v3
	v_add_nc_u32_e32 v7, s18, v3
	;; [unrolled: 1-line block ×3, first 2 shown]
	s_add_i32 s19, s19, -1
	v_lshlrev_b64 v[3:4], 3, v[3:4]
	v_ashrrev_i32_e32 v6, 31, v5
	v_ashrrev_i32_e32 v8, 31, v7
	;; [unrolled: 1-line block ×3, first 2 shown]
	s_cmp_eq_u32 s19, 0
	v_lshlrev_b64 v[5:6], 3, v[5:6]
	s_waitcnt lgkmcnt(0)
	v_add_co_u32 v15, vcc_lo, s10, v3
	v_add_co_ci_u32_e64 v16, null, s11, v4, vcc_lo
	v_add_co_u32 v17, vcc_lo, s12, v3
	v_lshlrev_b64 v[11:12], 3, v[7:8]
	v_add_co_ci_u32_e64 v18, null, s13, v4, vcc_lo
	v_add_co_u32 v19, vcc_lo, s14, v3
	v_add_co_ci_u32_e64 v20, null, s15, v4, vcc_lo
	v_add_co_u32 v21, vcc_lo, s2, v3
	;; [unrolled: 2-line block ×8, first 2 shown]
	v_add_co_ci_u32_e64 v32, null, s13, v12, vcc_lo
	global_load_dwordx2 v[3:4], v[3:4], off
	s_clause 0x1
	global_load_dwordx2 v[39:40], v[23:24], off
	global_load_dwordx2 v[41:42], v[25:26], off
	s_clause 0x1
	global_load_dwordx2 v[43:44], v[27:28], off
	global_load_dwordx2 v[45:46], v[29:30], off
	;; [unrolled: 1-line block ×3, first 2 shown]
	v_lshlrev_b64 v[13:14], 3, v[9:10]
	v_add_co_u32 v33, vcc_lo, s12, v5
	v_add_co_ci_u32_e64 v34, null, s13, v6, vcc_lo
	v_add_co_u32 v35, vcc_lo, s14, v11
	v_add_co_ci_u32_e64 v36, null, s15, v12, vcc_lo
	;; [unrolled: 2-line block ×6, first 2 shown]
	s_waitcnt vmcnt(5)
	v_mul_f64 v[49:50], v[3:4], v[3:4]
	s_waitcnt vmcnt(4)
	v_fma_f64 v[49:50], v[39:40], v[39:40], v[49:50]
	v_cmp_gt_f64_e32 vcc_lo, 0x10000000, v[49:50]
	v_cndmask_b32_e64 v8, 0, 0x100, vcc_lo
	v_ldexp_f64 v[49:50], v[49:50], v8
	v_cndmask_b32_e64 v8, 0, 0xffffff80, vcc_lo
	v_rsq_f64_e32 v[51:52], v[49:50]
	v_cmp_class_f64_e64 vcc_lo, v[49:50], 0x260
	v_mul_f64 v[53:54], v[49:50], v[51:52]
	v_mul_f64 v[51:52], v[51:52], 0.5
	v_fma_f64 v[55:56], -v[51:52], v[53:54], 0.5
	v_fma_f64 v[53:54], v[53:54], v[55:56], v[53:54]
	v_fma_f64 v[51:52], v[51:52], v[55:56], v[51:52]
	v_fma_f64 v[55:56], -v[53:54], v[53:54], v[49:50]
	v_fma_f64 v[53:54], v[55:56], v[51:52], v[53:54]
	v_fma_f64 v[55:56], -v[53:54], v[53:54], v[49:50]
	v_fma_f64 v[51:52], v[55:56], v[51:52], v[53:54]
	v_ldexp_f64 v[51:52], v[51:52], v8
	v_cndmask_b32_e32 v50, v52, v50, vcc_lo
	v_cndmask_b32_e32 v49, v51, v49, vcc_lo
	v_div_scale_f64 v[51:52], null, v[49:50], v[49:50], v[39:40]
	v_div_scale_f64 v[53:54], vcc_lo, v[39:40], v[49:50], v[39:40]
	v_div_scale_f64 v[55:56], null, v[49:50], v[49:50], v[3:4]
	v_rcp_f64_e32 v[57:58], v[51:52]
	v_fma_f64 v[59:60], -v[51:52], v[57:58], 1.0
	v_fma_f64 v[57:58], v[57:58], v[59:60], v[57:58]
	v_fma_f64 v[59:60], -v[51:52], v[57:58], 1.0
	v_fma_f64 v[57:58], v[57:58], v[59:60], v[57:58]
	v_mul_f64 v[59:60], v[53:54], v[57:58]
	v_fma_f64 v[51:52], -v[51:52], v[59:60], v[53:54]
	v_div_scale_f64 v[53:54], s0, v[3:4], v[49:50], v[3:4]
	v_div_fmas_f64 v[51:52], v[51:52], v[57:58], v[59:60]
	v_rcp_f64_e32 v[57:58], v[55:56]
	s_mov_b32 vcc_lo, s0
	v_div_fixup_f64 v[51:52], v[51:52], v[49:50], v[39:40]
	v_fma_f64 v[59:60], -v[55:56], v[57:58], 1.0
	v_fma_f64 v[57:58], v[57:58], v[59:60], v[57:58]
	v_fma_f64 v[59:60], -v[55:56], v[57:58], 1.0
	v_fma_f64 v[57:58], v[57:58], v[59:60], v[57:58]
	v_mul_f64 v[59:60], v[53:54], v[57:58]
	v_fma_f64 v[53:54], -v[55:56], v[59:60], v[53:54]
	global_load_dwordx2 v[55:56], v[33:34], off
	v_div_fmas_f64 v[53:54], v[53:54], v[57:58], v[59:60]
	global_load_dwordx2 v[57:58], v[35:36], off
	global_load_dwordx2 v[59:60], v[5:6], off
	v_div_fixup_f64 v[49:50], v[53:54], v[49:50], v[3:4]
	global_load_dwordx2 v[53:54], v[37:38], off
	v_mul_f64 v[3:4], v[3:4], v[49:50]
	v_fma_f64 v[39:40], v[39:40], v[51:52], v[3:4]
	s_waitcnt vmcnt(7)
	v_mul_f64 v[3:4], v[41:42], v[51:52]
	v_mul_f64 v[41:42], v[41:42], v[49:50]
	s_waitcnt vmcnt(6)
	v_fma_f64 v[61:62], -v[43:44], v[49:50], v[3:4]
	v_fma_f64 v[41:42], v[43:44], v[51:52], v[41:42]
	s_waitcnt vmcnt(5)
	v_mul_f64 v[3:4], v[45:46], v[51:52]
	v_mul_f64 v[43:44], v[45:46], v[49:50]
	s_waitcnt vmcnt(4)
	v_fma_f64 v[45:46], -v[47:48], v[49:50], v[3:4]
	;; [unrolled: 6-line block ×3, first 2 shown]
	v_fma_f64 v[47:48], v[57:58], v[51:52], v[47:48]
	s_waitcnt vmcnt(1)
	v_mul_f64 v[3:4], v[51:52], v[59:60]
	v_mul_f64 v[57:58], v[49:50], v[59:60]
	global_load_dwordx2 v[59:60], v[10:11], off
	s_waitcnt vmcnt(0)
	v_fma_f64 v[63:64], -v[59:60], v[49:50], v[3:4]
	v_ashrrev_i32_e32 v3, 31, v2
	v_mul_f64 v[49:50], v[49:50], v[53:54]
	v_fma_f64 v[57:58], v[59:60], v[51:52], v[57:58]
	global_store_dwordx2 v[13:14], v[49:50], off
	global_store_dwordx2 v[27:28], v[41:42], off
	;; [unrolled: 1-line block ×3, first 2 shown]
	v_lshlrev_b64 v[59:60], 3, v[2:3]
	v_mul_f64 v[2:3], v[51:52], v[53:54]
	v_add_co_u32 v51, vcc_lo, s20, v59
	v_add_co_ci_u32_e64 v52, null, s21, v60, vcc_lo
	global_load_dwordx2 v[29:30], v[51:52], off
	global_store_dwordx2 v[31:32], v[43:44], off
	global_store_dwordx2 v[33:34], v[55:56], off
	;; [unrolled: 1-line block ×6, first 2 shown]
	global_load_dwordx2 v[4:5], v[15:16], off
	global_load_dwordx2 v[33:34], v[17:18], off
	v_mul_f64 v[2:3], v[39:40], v[39:40]
	s_waitcnt vmcnt(1)
	v_fma_f64 v[2:3], v[4:5], v[4:5], v[2:3]
	v_cmp_gt_f64_e32 vcc_lo, 0x10000000, v[2:3]
	v_cndmask_b32_e64 v6, 0, 0x100, vcc_lo
	v_ldexp_f64 v[2:3], v[2:3], v6
	v_cndmask_b32_e64 v6, 0, 0xffffff80, vcc_lo
	v_rsq_f64_e32 v[37:38], v[2:3]
	v_cmp_class_f64_e64 vcc_lo, v[2:3], 0x260
	v_mul_f64 v[45:46], v[2:3], v[37:38]
	v_mul_f64 v[37:38], v[37:38], 0.5
	v_fma_f64 v[53:54], -v[37:38], v[45:46], 0.5
	v_fma_f64 v[45:46], v[45:46], v[53:54], v[45:46]
	v_fma_f64 v[37:38], v[37:38], v[53:54], v[37:38]
	v_fma_f64 v[53:54], -v[45:46], v[45:46], v[2:3]
	v_fma_f64 v[45:46], v[53:54], v[37:38], v[45:46]
	v_fma_f64 v[53:54], -v[45:46], v[45:46], v[2:3]
	v_fma_f64 v[37:38], v[53:54], v[37:38], v[45:46]
	v_ldexp_f64 v[37:38], v[37:38], v6
	v_cndmask_b32_e32 v3, v38, v3, vcc_lo
	v_cndmask_b32_e32 v2, v37, v2, vcc_lo
	v_div_scale_f64 v[37:38], null, v[2:3], v[2:3], v[4:5]
	v_div_scale_f64 v[45:46], vcc_lo, v[4:5], v[2:3], v[4:5]
	v_div_scale_f64 v[53:54], null, v[2:3], v[2:3], v[39:40]
	v_rcp_f64_e32 v[55:56], v[37:38]
	v_fma_f64 v[57:58], -v[37:38], v[55:56], 1.0
	v_fma_f64 v[55:56], v[55:56], v[57:58], v[55:56]
	v_fma_f64 v[57:58], -v[37:38], v[55:56], 1.0
	v_fma_f64 v[55:56], v[55:56], v[57:58], v[55:56]
	v_mul_f64 v[57:58], v[45:46], v[55:56]
	v_fma_f64 v[37:38], -v[37:38], v[57:58], v[45:46]
	v_div_scale_f64 v[45:46], s0, v[39:40], v[2:3], v[39:40]
	v_div_fmas_f64 v[37:38], v[37:38], v[55:56], v[57:58]
	v_rcp_f64_e32 v[55:56], v[53:54]
	s_mov_b32 vcc_lo, s0
	v_div_fixup_f64 v[37:38], v[37:38], v[2:3], v[4:5]
	v_fma_f64 v[57:58], -v[53:54], v[55:56], 1.0
	v_fma_f64 v[55:56], v[55:56], v[57:58], v[55:56]
	v_fma_f64 v[57:58], -v[53:54], v[55:56], 1.0
	v_fma_f64 v[55:56], v[55:56], v[57:58], v[55:56]
	v_mul_f64 v[57:58], v[45:46], v[55:56]
	v_fma_f64 v[45:46], -v[53:54], v[57:58], v[45:46]
	global_load_dwordx2 v[53:54], v[10:11], off
	v_div_fmas_f64 v[45:46], v[45:46], v[55:56], v[57:58]
	global_load_dwordx2 v[55:56], v[19:20], off
	global_load_dwordx2 v[57:58], v[21:22], off
	v_add_co_u32 v6, vcc_lo, s22, v59
	v_div_fixup_f64 v[2:3], v[45:46], v[2:3], v[39:40]
	v_mul_f64 v[45:46], v[39:40], v[2:3]
	v_mul_f64 v[63:64], v[49:50], v[2:3]
	;; [unrolled: 1-line block ×3, first 2 shown]
	v_fma_f64 v[4:5], v[4:5], v[37:38], v[45:46]
	v_mul_f64 v[45:46], v[41:42], v[37:38]
	v_mul_f64 v[41:42], v[41:42], v[2:3]
	s_waitcnt vmcnt(3)
	v_fma_f64 v[45:46], -v[33:34], v[2:3], v[45:46]
	v_fma_f64 v[33:34], v[33:34], v[37:38], v[41:42]
	v_mul_f64 v[41:42], v[43:44], v[37:38]
	v_mul_f64 v[43:44], v[43:44], v[2:3]
	s_waitcnt vmcnt(1)
	v_fma_f64 v[41:42], -v[55:56], v[2:3], v[41:42]
	v_fma_f64 v[43:44], v[55:56], v[37:38], v[43:44]
	v_mul_f64 v[55:56], v[47:48], v[37:38]
	v_mul_f64 v[47:48], v[47:48], v[2:3]
	v_fma_f64 v[55:56], -v[29:30], v[2:3], v[55:56]
	v_fma_f64 v[29:30], v[29:30], v[37:38], v[47:48]
	v_mul_f64 v[47:48], v[37:38], v[53:54]
	v_mul_f64 v[53:54], v[2:3], v[53:54]
	s_waitcnt vmcnt(0)
	v_fma_f64 v[47:48], -v[57:58], v[2:3], v[47:48]
	v_fma_f64 v[37:38], v[57:58], v[37:38], v[53:54]
	v_mov_b32_e32 v3, v7
	v_mov_b32_e32 v2, v9
	v_add_co_ci_u32_e64 v7, null, s23, v60, vcc_lo
	global_store_dwordx2 v[23:24], v[39:40], off
	global_store_dwordx2 v[25:26], v[61:62], off
	;; [unrolled: 1-line block ×13, first 2 shown]
	s_cbranch_scc0 .LBB5_3
.LBB5_4:
	s_add_i32 s0, s16, -1
	s_mul_i32 s4, s18, s0
	v_add_nc_u32_e32 v2, s4, v1
	s_sub_i32 s5, s4, s18
	v_add_nc_u32_e32 v6, s5, v1
	v_ashrrev_i32_e32 v3, 31, v2
	v_ashrrev_i32_e32 v7, 31, v6
	v_lshlrev_b64 v[2:3], 3, v[2:3]
	v_lshlrev_b64 v[6:7], 3, v[6:7]
	s_waitcnt lgkmcnt(0)
	v_add_co_u32 v4, vcc_lo, s8, v2
	v_add_co_ci_u32_e64 v5, null, s9, v3, vcc_lo
	v_add_co_u32 v8, vcc_lo, s10, v6
	v_add_co_ci_u32_e64 v9, null, s11, v7, vcc_lo
	global_load_dwordx2 v[4:5], v[4:5], off
	v_add_co_u32 v14, vcc_lo, s10, v2
	global_load_dwordx2 v[10:11], v[8:9], off
	v_add_co_ci_u32_e64 v15, null, s11, v3, vcc_lo
	v_add_co_u32 v24, s0, s2, v2
	v_add_co_ci_u32_e64 v25, null, s3, v3, s0
	global_load_dwordx2 v[16:17], v[14:15], off
	global_load_dwordx2 v[26:27], v[24:25], off
	s_waitcnt vmcnt(3)
	v_mul_f64 v[12:13], v[4:5], v[4:5]
	s_waitcnt vmcnt(2)
	v_fma_f64 v[12:13], v[10:11], v[10:11], v[12:13]
	v_cmp_gt_f64_e32 vcc_lo, 0x10000000, v[12:13]
	v_cndmask_b32_e64 v18, 0, 0x100, vcc_lo
	v_ldexp_f64 v[12:13], v[12:13], v18
	v_rsq_f64_e32 v[18:19], v[12:13]
	v_mul_f64 v[20:21], v[12:13], v[18:19]
	v_mul_f64 v[18:19], v[18:19], 0.5
	v_fma_f64 v[22:23], -v[18:19], v[20:21], 0.5
	v_fma_f64 v[20:21], v[20:21], v[22:23], v[20:21]
	v_fma_f64 v[18:19], v[18:19], v[22:23], v[18:19]
	v_fma_f64 v[22:23], -v[20:21], v[20:21], v[12:13]
	v_fma_f64 v[20:21], v[22:23], v[18:19], v[20:21]
	v_add_co_u32 v22, s0, s12, v6
	v_add_co_ci_u32_e64 v23, null, s13, v7, s0
	v_add_co_u32 v28, s0, s2, v6
	v_add_co_ci_u32_e64 v29, null, s3, v7, s0
	global_load_dwordx2 v[30:31], v[22:23], off
	global_load_dwordx2 v[32:33], v[28:29], off
	v_add_co_u32 v6, s1, s14, v6
	v_add_co_ci_u32_e64 v7, null, s15, v7, s1
	global_load_dwordx2 v[48:49], v[6:7], off
	v_fma_f64 v[34:35], -v[20:21], v[20:21], v[12:13]
	v_fma_f64 v[18:19], v[34:35], v[18:19], v[20:21]
	v_cndmask_b32_e64 v20, 0, 0xffffff80, vcc_lo
	v_cmp_class_f64_e64 vcc_lo, v[12:13], 0x260
	v_ldexp_f64 v[18:19], v[18:19], v20
	v_cndmask_b32_e32 v13, v19, v13, vcc_lo
	v_cndmask_b32_e32 v12, v18, v12, vcc_lo
	v_div_scale_f64 v[18:19], null, v[12:13], v[12:13], v[10:11]
	v_div_scale_f64 v[20:21], null, v[12:13], v[12:13], v[4:5]
	v_div_scale_f64 v[42:43], vcc_lo, v[10:11], v[12:13], v[10:11]
	v_rcp_f64_e32 v[34:35], v[18:19]
	v_rcp_f64_e32 v[36:37], v[20:21]
	v_fma_f64 v[38:39], -v[18:19], v[34:35], 1.0
	v_fma_f64 v[40:41], -v[20:21], v[36:37], 1.0
	v_fma_f64 v[34:35], v[34:35], v[38:39], v[34:35]
	v_fma_f64 v[36:37], v[36:37], v[40:41], v[36:37]
	v_fma_f64 v[38:39], -v[18:19], v[34:35], 1.0
	v_fma_f64 v[40:41], -v[20:21], v[36:37], 1.0
	v_fma_f64 v[34:35], v[34:35], v[38:39], v[34:35]
	v_add_co_u32 v38, s0, s12, v2
	v_add_co_ci_u32_e64 v39, null, s13, v3, s0
	v_div_scale_f64 v[46:47], s0, v[4:5], v[12:13], v[4:5]
	v_fma_f64 v[36:37], v[36:37], v[40:41], v[36:37]
	global_load_dwordx2 v[44:45], v[38:39], off
	v_mul_f64 v[40:41], v[42:43], v[34:35]
	v_mul_f64 v[50:51], v[46:47], v[36:37]
	v_fma_f64 v[18:19], -v[18:19], v[40:41], v[42:43]
	v_fma_f64 v[20:21], -v[20:21], v[50:51], v[46:47]
	v_div_fmas_f64 v[18:19], v[18:19], v[34:35], v[40:41]
	s_mov_b32 vcc_lo, s0
	s_sub_i32 s0, s5, s18
	v_div_fmas_f64 v[20:21], v[20:21], v[36:37], v[50:51]
	v_div_fixup_f64 v[18:19], v[18:19], v[12:13], v[10:11]
	v_div_fixup_f64 v[12:13], v[20:21], v[12:13], v[4:5]
	s_waitcnt vmcnt(5)
	v_mul_f64 v[20:21], v[16:17], v[18:19]
	s_waitcnt vmcnt(4)
	v_mul_f64 v[34:35], v[18:19], v[26:27]
	v_mul_f64 v[16:17], v[16:17], v[12:13]
	;; [unrolled: 1-line block ×4, first 2 shown]
	s_waitcnt vmcnt(3)
	v_fma_f64 v[20:21], -v[30:31], v[12:13], v[20:21]
	s_waitcnt vmcnt(2)
	v_fma_f64 v[34:35], -v[32:33], v[12:13], v[34:35]
	v_fma_f64 v[16:17], v[30:31], v[18:19], v[16:17]
	v_fma_f64 v[26:27], v[32:33], v[18:19], v[26:27]
	;; [unrolled: 1-line block ×3, first 2 shown]
	v_div_scale_f64 v[36:37], null, v[20:21], v[20:21], v[34:35]
	v_div_scale_f64 v[46:47], vcc_lo, v[34:35], v[20:21], v[34:35]
	v_rcp_f64_e32 v[40:41], v[36:37]
	v_fma_f64 v[42:43], -v[36:37], v[40:41], 1.0
	v_fma_f64 v[40:41], v[40:41], v[42:43], v[40:41]
	v_fma_f64 v[42:43], -v[36:37], v[40:41], 1.0
	v_fma_f64 v[40:41], v[40:41], v[42:43], v[40:41]
	v_mul_f64 v[42:43], v[46:47], v[40:41]
	v_fma_f64 v[36:37], -v[36:37], v[42:43], v[46:47]
	s_waitcnt vmcnt(0)
	v_mul_f64 v[46:47], v[44:45], v[18:19]
	v_div_fmas_f64 v[36:37], v[36:37], v[40:41], v[42:43]
	v_add_co_u32 v2, vcc_lo, s14, v2
	v_add_co_ci_u32_e64 v3, null, s15, v3, vcc_lo
	global_load_dwordx2 v[40:41], v[2:3], off
	v_fma_f64 v[30:31], -v[48:49], v[12:13], v[46:47]
	global_store_dwordx2 v[22:23], v[16:17], off
	global_store_dwordx2 v[38:39], v[30:31], off
	;; [unrolled: 1-line block ×3, first 2 shown]
	v_div_fixup_f64 v[32:33], v[36:37], v[20:21], v[34:35]
	global_load_dwordx2 v[10:11], v[22:23], off
	v_mul_f64 v[34:35], v[44:45], v[12:13]
	global_store_dwordx2 v[24:25], v[32:33], off
	global_load_dwordx2 v[16:17], v[28:29], off
	global_store_dwordx2 v[8:9], v[4:5], off
	global_store_dwordx2 v[14:15], v[20:21], off
	global_load_dwordx2 v[4:5], v[8:9], off
	v_mad_u64_u32 v[8:9], null, s17, s7, v[1:2]
	v_fma_f64 v[34:35], v[48:49], v[18:19], v[34:35]
	v_ashrrev_i32_e32 v9, 31, v8
	v_lshlrev_b64 v[14:15], 3, v[8:9]
	v_add_co_u32 v20, vcc_lo, s20, v14
	v_add_co_ci_u32_e64 v21, null, s21, v15, vcc_lo
	global_load_dwordx2 v[22:23], v[20:21], off
	s_waitcnt vmcnt(2)
	v_fma_f64 v[9:10], -v[32:33], v[10:11], v[16:17]
	s_waitcnt vmcnt(1)
	v_div_scale_f64 v[16:17], null, v[4:5], v[4:5], v[9:10]
	v_div_scale_f64 v[32:33], vcc_lo, v[9:10], v[4:5], v[9:10]
	v_rcp_f64_e32 v[26:27], v[16:17]
	v_fma_f64 v[30:31], -v[16:17], v[26:27], 1.0
	v_fma_f64 v[26:27], v[26:27], v[30:31], v[26:27]
	v_fma_f64 v[30:31], -v[16:17], v[26:27], 1.0
	v_fma_f64 v[26:27], v[26:27], v[30:31], v[26:27]
	v_mul_f64 v[30:31], v[32:33], v[26:27]
	v_fma_f64 v[16:17], -v[16:17], v[30:31], v[32:33]
	v_mul_f64 v[32:33], v[18:19], v[40:41]
	v_div_fmas_f64 v[16:17], v[16:17], v[26:27], v[30:31]
	v_add_nc_u32_e32 v26, s17, v8
	v_add_nc_u32_e32 v30, s0, v1
	s_waitcnt vmcnt(0)
	v_fma_f64 v[32:33], -v[22:23], v[12:13], v[32:33]
	s_sub_i32 s0, s0, s18
	s_cmp_lt_i32 s16, 5
	v_ashrrev_i32_e32 v27, 31, v26
	v_ashrrev_i32_e32 v31, 31, v30
	v_add_nc_u32_e32 v1, s0, v1
	v_div_fixup_f64 v[4:5], v[16:17], v[4:5], v[9:10]
	v_lshlrev_b64 v[8:9], 3, v[26:27]
	v_lshlrev_b64 v[10:11], 3, v[30:31]
	v_mad_u64_u32 v[26:27], null, s17, -3, v[26:27]
	v_add_co_u32 v8, vcc_lo, s20, v8
	v_add_co_ci_u32_e64 v9, null, s21, v9, vcc_lo
	v_add_co_u32 v16, vcc_lo, s12, v10
	v_add_co_ci_u32_e64 v17, null, s13, v11, vcc_lo
	;; [unrolled: 2-line block ×3, first 2 shown]
	global_load_dwordx2 v[16:17], v[16:17], off
	v_add_co_u32 v42, vcc_lo, s14, v10
	global_store_dwordx2 v[28:29], v[4:5], off
	global_load_dwordx2 v[38:39], v[30:31], off
	v_add_co_ci_u32_e64 v43, null, s15, v11, vcc_lo
	global_load_dwordx2 v[36:37], v[8:9], off
	global_store_dwordx2 v[6:7], v[34:35], off
	global_store_dwordx2 v[2:3], v[32:33], off
	global_load_dwordx2 v[2:3], v[42:43], off
	global_load_dwordx2 v[6:7], v[24:25], off
	v_add_co_u32 v10, vcc_lo, s10, v10
	v_add_co_ci_u32_e64 v11, null, s11, v11, vcc_lo
	v_ashrrev_i32_e32 v27, 31, v26
	global_load_dwordx2 v[10:11], v[10:11], off
	v_lshlrev_b64 v[26:27], 3, v[26:27]
	s_waitcnt vmcnt(4)
	v_fma_f64 v[4:5], -v[4:5], v[16:17], v[38:39]
	s_waitcnt vmcnt(1)
	v_fma_f64 v[2:3], -v[2:3], v[6:7], v[4:5]
	s_waitcnt vmcnt(0)
	v_div_scale_f64 v[4:5], null, v[10:11], v[10:11], v[2:3]
	v_div_scale_f64 v[32:33], vcc_lo, v[2:3], v[10:11], v[2:3]
	v_rcp_f64_e32 v[6:7], v[4:5]
	v_fma_f64 v[16:17], -v[4:5], v[6:7], 1.0
	v_fma_f64 v[6:7], v[6:7], v[16:17], v[6:7]
	v_fma_f64 v[16:17], -v[4:5], v[6:7], 1.0
	v_fma_f64 v[6:7], v[6:7], v[16:17], v[6:7]
	v_mul_f64 v[16:17], v[32:33], v[6:7]
	v_fma_f64 v[4:5], -v[4:5], v[16:17], v[32:33]
	v_div_fmas_f64 v[4:5], v[4:5], v[6:7], v[16:17]
	v_mul_f64 v[16:17], v[12:13], v[40:41]
	v_div_fixup_f64 v[3:4], v[4:5], v[10:11], v[2:3]
	v_ashrrev_i32_e32 v2, 31, v1
	v_fma_f64 v[16:17], v[22:23], v[18:19], v[16:17]
	v_mul_f64 v[18:19], v[18:19], v[36:37]
	v_lshlrev_b64 v[1:2], 3, v[1:2]
	v_add_co_u32 v5, vcc_lo, s12, v1
	v_add_co_ci_u32_e64 v6, null, s13, v2, vcc_lo
	v_add_co_u32 v10, vcc_lo, s2, v1
	v_add_co_ci_u32_e64 v11, null, s3, v2, vcc_lo
	global_load_dwordx2 v[5:6], v[5:6], off
	v_add_co_u32 v32, vcc_lo, s14, v1
	global_store_dwordx2 v[30:31], v[3:4], off
	global_load_dwordx2 v[30:31], v[10:11], off
	v_add_co_ci_u32_e64 v33, null, s15, v2, vcc_lo
	global_load_dwordx2 v[22:23], v[32:33], off
	global_load_dwordx2 v[28:29], v[28:29], off
	v_add_co_u32 v26, vcc_lo, s20, v26
	v_add_co_ci_u32_e64 v27, null, s21, v27, vcc_lo
	global_store_dwordx2 v[20:21], v[16:17], off
	global_store_dwordx2 v[8:9], v[18:19], off
	global_load_dwordx2 v[7:8], v[26:27], off
	global_load_dwordx2 v[16:17], v[24:25], off
	v_add_co_u32 v1, vcc_lo, s10, v1
	v_add_co_ci_u32_e64 v2, null, s11, v2, vcc_lo
	global_load_dwordx2 v[1:2], v[1:2], off
	s_waitcnt vmcnt(5)
	v_fma_f64 v[3:4], -v[3:4], v[5:6], v[30:31]
	s_waitcnt vmcnt(3)
	v_fma_f64 v[3:4], -v[22:23], v[28:29], v[3:4]
	s_waitcnt vmcnt(1)
	v_fma_f64 v[3:4], -v[7:8], v[16:17], v[3:4]
	s_waitcnt vmcnt(0)
	v_div_scale_f64 v[5:6], null, v[1:2], v[1:2], v[3:4]
	v_rcp_f64_e32 v[7:8], v[5:6]
	v_fma_f64 v[16:17], -v[5:6], v[7:8], 1.0
	v_fma_f64 v[7:8], v[7:8], v[16:17], v[7:8]
	v_fma_f64 v[16:17], -v[5:6], v[7:8], 1.0
	v_fma_f64 v[7:8], v[7:8], v[16:17], v[7:8]
	v_div_scale_f64 v[16:17], vcc_lo, v[3:4], v[1:2], v[3:4]
	v_mul_f64 v[18:19], v[16:17], v[7:8]
	v_fma_f64 v[5:6], -v[5:6], v[18:19], v[16:17]
	v_div_fmas_f64 v[5:6], v[5:6], v[7:8], v[18:19]
	v_mul_f64 v[7:8], v[12:13], v[36:37]
	v_div_fixup_f64 v[1:2], v[5:6], v[1:2], v[3:4]
	v_add_co_u32 v3, vcc_lo, s22, v14
	v_add_co_ci_u32_e64 v4, null, s23, v15, vcc_lo
	global_store_dwordx2 v[3:4], v[7:8], off
	global_store_dwordx2 v[10:11], v[1:2], off
	s_cbranch_scc1 .LBB5_7
; %bb.5:
	s_add_i32 s1, s16, -5
	s_add_i32 s0, s16, -4
	v_mad_u64_u32 v[1:2], null, s17, s1, v[0:1]
	s_add_i32 s5, s16, -3
	v_mad_u64_u32 v[2:3], null, s18, s0, v[0:1]
	v_mad_u64_u32 v[3:4], null, s18, s5, v[0:1]
	v_mad_u64_u32 v[4:5], null, s18, s7, v[0:1]
	v_mad_u64_u32 v[5:6], null, s18, s1, v[0:1]
	v_add_nc_u32_e32 v0, s4, v0
.LBB5_6:                                ; =>This Inner Loop Header: Depth=1
	v_add_nc_u32_e32 v6, s6, v5
	v_add_nc_u32_e32 v8, s6, v2
	v_add_nc_u32_e32 v10, s6, v3
	v_add_nc_u32_e32 v16, s6, v1
	v_add_nc_u32_e32 v18, s6, v4
	v_ashrrev_i32_e32 v7, 31, v6
	v_ashrrev_i32_e32 v9, 31, v8
	;; [unrolled: 1-line block ×5, first 2 shown]
	v_lshlrev_b64 v[6:7], 3, v[6:7]
	v_lshlrev_b64 v[8:9], 3, v[8:9]
	v_lshlrev_b64 v[10:11], 3, v[10:11]
	v_lshlrev_b64 v[16:17], 3, v[16:17]
	v_lshlrev_b64 v[18:19], 3, v[18:19]
	v_add_nc_u32_e32 v26, s6, v0
	v_add_co_u32 v12, vcc_lo, s2, v6
	v_add_co_ci_u32_e64 v13, null, s3, v7, vcc_lo
	v_add_co_u32 v14, vcc_lo, s12, v6
	v_add_co_ci_u32_e64 v15, null, s13, v7, vcc_lo
	;; [unrolled: 2-line block ×3, first 2 shown]
	global_load_dwordx2 v[20:21], v[12:13], off
	global_load_dwordx2 v[14:15], v[14:15], off
	;; [unrolled: 1-line block ×3, first 2 shown]
	v_add_co_u32 v22, vcc_lo, s14, v6
	v_add_co_ci_u32_e64 v23, null, s15, v7, vcc_lo
	v_add_co_u32 v10, vcc_lo, s2, v10
	v_add_co_ci_u32_e64 v11, null, s3, v11, vcc_lo
	global_load_dwordx2 v[22:23], v[22:23], off
	global_load_dwordx2 v[10:11], v[10:11], off
	v_add_co_u32 v24, vcc_lo, s20, v16
	v_add_co_ci_u32_e64 v25, null, s21, v17, vcc_lo
	v_add_co_u32 v18, vcc_lo, s2, v18
	v_add_co_ci_u32_e64 v19, null, s3, v19, vcc_lo
	global_load_dwordx2 v[24:25], v[24:25], off
	global_load_dwordx2 v[18:19], v[18:19], off
	v_ashrrev_i32_e32 v27, 31, v26
	v_add_co_u32 v16, vcc_lo, s22, v16
	v_add_co_ci_u32_e64 v17, null, s23, v17, vcc_lo
	v_lshlrev_b64 v[26:27], 3, v[26:27]
	v_subrev_nc_u32_e32 v1, s17, v1
	v_subrev_nc_u32_e32 v2, s18, v2
	;; [unrolled: 1-line block ×5, first 2 shown]
	v_add_co_u32 v26, vcc_lo, s2, v26
	v_add_co_ci_u32_e64 v27, null, s3, v27, vcc_lo
	global_load_dwordx2 v[16:17], v[16:17], off
	global_load_dwordx2 v[26:27], v[26:27], off
	v_add_co_u32 v6, vcc_lo, s10, v6
	v_add_co_ci_u32_e64 v7, null, s11, v7, vcc_lo
	v_subrev_nc_u32_e32 v5, s18, v5
	s_add_i32 s0, s0, -1
	global_load_dwordx2 v[6:7], v[6:7], off
	s_cmp_lg_u32 s0, 0
	s_waitcnt vmcnt(7)
	v_fma_f64 v[8:9], -v[14:15], v[8:9], v[20:21]
	s_waitcnt vmcnt(5)
	v_fma_f64 v[8:9], -v[22:23], v[10:11], v[8:9]
	s_waitcnt vmcnt(3)
	v_fma_f64 v[8:9], -v[24:25], v[18:19], v[8:9]
	s_waitcnt vmcnt(1)
	v_fma_f64 v[8:9], -v[16:17], v[26:27], v[8:9]
	s_waitcnt vmcnt(0)
	v_div_scale_f64 v[10:11], null, v[6:7], v[6:7], v[8:9]
	v_div_scale_f64 v[18:19], vcc_lo, v[8:9], v[6:7], v[8:9]
	v_rcp_f64_e32 v[14:15], v[10:11]
	v_fma_f64 v[16:17], -v[10:11], v[14:15], 1.0
	v_fma_f64 v[14:15], v[14:15], v[16:17], v[14:15]
	v_fma_f64 v[16:17], -v[10:11], v[14:15], 1.0
	v_fma_f64 v[14:15], v[14:15], v[16:17], v[14:15]
	v_mul_f64 v[16:17], v[18:19], v[14:15]
	v_fma_f64 v[10:11], -v[10:11], v[16:17], v[18:19]
	v_div_fmas_f64 v[10:11], v[10:11], v[14:15], v[16:17]
	v_div_fixup_f64 v[6:7], v[10:11], v[6:7], v[8:9]
	global_store_dwordx2 v[12:13], v[6:7], off
	s_cbranch_scc1 .LBB5_6
.LBB5_7:
	s_endpgm
	.section	.rodata,"a",@progbits
	.p2align	6, 0x0
	.amdhsa_kernel _ZN9rocsparseL39gpsv_interleaved_batch_givens_qr_kernelILj128EdEEviiiPT0_S2_S2_S2_S2_S2_S2_S2_
		.amdhsa_group_segment_fixed_size 0
		.amdhsa_private_segment_fixed_size 0
		.amdhsa_kernarg_size 80
		.amdhsa_user_sgpr_count 6
		.amdhsa_user_sgpr_private_segment_buffer 1
		.amdhsa_user_sgpr_dispatch_ptr 0
		.amdhsa_user_sgpr_queue_ptr 0
		.amdhsa_user_sgpr_kernarg_segment_ptr 1
		.amdhsa_user_sgpr_dispatch_id 0
		.amdhsa_user_sgpr_flat_scratch_init 0
		.amdhsa_user_sgpr_private_segment_size 0
		.amdhsa_wavefront_size32 1
		.amdhsa_uses_dynamic_stack 0
		.amdhsa_system_sgpr_private_segment_wavefront_offset 0
		.amdhsa_system_sgpr_workgroup_id_x 1
		.amdhsa_system_sgpr_workgroup_id_y 0
		.amdhsa_system_sgpr_workgroup_id_z 0
		.amdhsa_system_sgpr_workgroup_info 0
		.amdhsa_system_vgpr_workitem_id 0
		.amdhsa_next_free_vgpr 65
		.amdhsa_next_free_sgpr 24
		.amdhsa_reserve_vcc 1
		.amdhsa_reserve_flat_scratch 0
		.amdhsa_float_round_mode_32 0
		.amdhsa_float_round_mode_16_64 0
		.amdhsa_float_denorm_mode_32 3
		.amdhsa_float_denorm_mode_16_64 3
		.amdhsa_dx10_clamp 1
		.amdhsa_ieee_mode 1
		.amdhsa_fp16_overflow 0
		.amdhsa_workgroup_processor_mode 1
		.amdhsa_memory_ordered 1
		.amdhsa_forward_progress 1
		.amdhsa_shared_vgpr_count 0
		.amdhsa_exception_fp_ieee_invalid_op 0
		.amdhsa_exception_fp_denorm_src 0
		.amdhsa_exception_fp_ieee_div_zero 0
		.amdhsa_exception_fp_ieee_overflow 0
		.amdhsa_exception_fp_ieee_underflow 0
		.amdhsa_exception_fp_ieee_inexact 0
		.amdhsa_exception_int_div_zero 0
	.end_amdhsa_kernel
	.section	.text._ZN9rocsparseL39gpsv_interleaved_batch_givens_qr_kernelILj128EdEEviiiPT0_S2_S2_S2_S2_S2_S2_S2_,"axG",@progbits,_ZN9rocsparseL39gpsv_interleaved_batch_givens_qr_kernelILj128EdEEviiiPT0_S2_S2_S2_S2_S2_S2_S2_,comdat
.Lfunc_end5:
	.size	_ZN9rocsparseL39gpsv_interleaved_batch_givens_qr_kernelILj128EdEEviiiPT0_S2_S2_S2_S2_S2_S2_S2_, .Lfunc_end5-_ZN9rocsparseL39gpsv_interleaved_batch_givens_qr_kernelILj128EdEEviiiPT0_S2_S2_S2_S2_S2_S2_S2_
                                        ; -- End function
	.set _ZN9rocsparseL39gpsv_interleaved_batch_givens_qr_kernelILj128EdEEviiiPT0_S2_S2_S2_S2_S2_S2_S2_.num_vgpr, 65
	.set _ZN9rocsparseL39gpsv_interleaved_batch_givens_qr_kernelILj128EdEEviiiPT0_S2_S2_S2_S2_S2_S2_S2_.num_agpr, 0
	.set _ZN9rocsparseL39gpsv_interleaved_batch_givens_qr_kernelILj128EdEEviiiPT0_S2_S2_S2_S2_S2_S2_S2_.numbered_sgpr, 24
	.set _ZN9rocsparseL39gpsv_interleaved_batch_givens_qr_kernelILj128EdEEviiiPT0_S2_S2_S2_S2_S2_S2_S2_.num_named_barrier, 0
	.set _ZN9rocsparseL39gpsv_interleaved_batch_givens_qr_kernelILj128EdEEviiiPT0_S2_S2_S2_S2_S2_S2_S2_.private_seg_size, 0
	.set _ZN9rocsparseL39gpsv_interleaved_batch_givens_qr_kernelILj128EdEEviiiPT0_S2_S2_S2_S2_S2_S2_S2_.uses_vcc, 1
	.set _ZN9rocsparseL39gpsv_interleaved_batch_givens_qr_kernelILj128EdEEviiiPT0_S2_S2_S2_S2_S2_S2_S2_.uses_flat_scratch, 0
	.set _ZN9rocsparseL39gpsv_interleaved_batch_givens_qr_kernelILj128EdEEviiiPT0_S2_S2_S2_S2_S2_S2_S2_.has_dyn_sized_stack, 0
	.set _ZN9rocsparseL39gpsv_interleaved_batch_givens_qr_kernelILj128EdEEviiiPT0_S2_S2_S2_S2_S2_S2_S2_.has_recursion, 0
	.set _ZN9rocsparseL39gpsv_interleaved_batch_givens_qr_kernelILj128EdEEviiiPT0_S2_S2_S2_S2_S2_S2_S2_.has_indirect_call, 0
	.section	.AMDGPU.csdata,"",@progbits
; Kernel info:
; codeLenInByte = 4172
; TotalNumSgprs: 26
; NumVgprs: 65
; ScratchSize: 0
; MemoryBound: 0
; FloatMode: 240
; IeeeMode: 1
; LDSByteSize: 0 bytes/workgroup (compile time only)
; SGPRBlocks: 0
; VGPRBlocks: 8
; NumSGPRsForWavesPerEU: 26
; NumVGPRsForWavesPerEU: 65
; Occupancy: 12
; WaveLimiterHint : 0
; COMPUTE_PGM_RSRC2:SCRATCH_EN: 0
; COMPUTE_PGM_RSRC2:USER_SGPR: 6
; COMPUTE_PGM_RSRC2:TRAP_HANDLER: 0
; COMPUTE_PGM_RSRC2:TGID_X_EN: 1
; COMPUTE_PGM_RSRC2:TGID_Y_EN: 0
; COMPUTE_PGM_RSRC2:TGID_Z_EN: 0
; COMPUTE_PGM_RSRC2:TIDIG_COMP_CNT: 0
	.section	.text._ZN9rocsparseL19gpsv_strided_gatherILj256E21rocsparse_complex_numIfEEEviiiPKT0_PS3_,"axG",@progbits,_ZN9rocsparseL19gpsv_strided_gatherILj256E21rocsparse_complex_numIfEEEviiiPKT0_PS3_,comdat
	.globl	_ZN9rocsparseL19gpsv_strided_gatherILj256E21rocsparse_complex_numIfEEEviiiPKT0_PS3_ ; -- Begin function _ZN9rocsparseL19gpsv_strided_gatherILj256E21rocsparse_complex_numIfEEEviiiPKT0_PS3_
	.p2align	8
	.type	_ZN9rocsparseL19gpsv_strided_gatherILj256E21rocsparse_complex_numIfEEEviiiPKT0_PS3_,@function
_ZN9rocsparseL19gpsv_strided_gatherILj256E21rocsparse_complex_numIfEEEviiiPKT0_PS3_: ; @_ZN9rocsparseL19gpsv_strided_gatherILj256E21rocsparse_complex_numIfEEEviiiPKT0_PS3_
; %bb.0:
	s_clause 0x1
	s_load_dword s7, s[4:5], 0x2c
	s_load_dwordx4 s[0:3], s[4:5], 0x0
	s_waitcnt lgkmcnt(0)
	s_and_b32 s3, s7, 0xffff
	s_cmp_gt_i32 s0, 0
	v_mad_u64_u32 v[0:1], null, s6, s3, v[0:1]
	s_cselect_b32 s3, -1, 0
	v_cmp_gt_i32_e32 vcc_lo, s1, v0
	s_and_b32 s3, vcc_lo, s3
	s_and_saveexec_b32 s6, s3
	s_cbranch_execz .LBB6_3
; %bb.1:
	s_load_dwordx4 s[4:7], s[4:5], 0x10
	v_mov_b32_e32 v2, v0
	.p2align	6
.LBB6_2:                                ; =>This Inner Loop Header: Depth=1
	v_ashrrev_i32_e32 v1, 31, v0
	s_add_i32 s0, s0, -1
	s_cmp_lg_u32 s0, 0
	v_lshlrev_b64 v[3:4], 3, v[0:1]
	v_add_nc_u32_e32 v0, s2, v0
	s_waitcnt lgkmcnt(0)
	v_add_co_u32 v3, vcc_lo, s4, v3
	v_add_co_ci_u32_e64 v4, null, s5, v4, vcc_lo
	global_load_dwordx2 v[4:5], v[3:4], off
	v_ashrrev_i32_e32 v3, 31, v2
	v_lshlrev_b64 v[6:7], 3, v[2:3]
	v_add_nc_u32_e32 v2, s1, v2
	v_add_co_u32 v6, vcc_lo, s6, v6
	v_add_co_ci_u32_e64 v7, null, s7, v7, vcc_lo
	s_waitcnt vmcnt(0)
	global_store_dwordx2 v[6:7], v[4:5], off
	s_cbranch_scc1 .LBB6_2
.LBB6_3:
	s_endpgm
	.section	.rodata,"a",@progbits
	.p2align	6, 0x0
	.amdhsa_kernel _ZN9rocsparseL19gpsv_strided_gatherILj256E21rocsparse_complex_numIfEEEviiiPKT0_PS3_
		.amdhsa_group_segment_fixed_size 0
		.amdhsa_private_segment_fixed_size 0
		.amdhsa_kernarg_size 288
		.amdhsa_user_sgpr_count 6
		.amdhsa_user_sgpr_private_segment_buffer 1
		.amdhsa_user_sgpr_dispatch_ptr 0
		.amdhsa_user_sgpr_queue_ptr 0
		.amdhsa_user_sgpr_kernarg_segment_ptr 1
		.amdhsa_user_sgpr_dispatch_id 0
		.amdhsa_user_sgpr_flat_scratch_init 0
		.amdhsa_user_sgpr_private_segment_size 0
		.amdhsa_wavefront_size32 1
		.amdhsa_uses_dynamic_stack 0
		.amdhsa_system_sgpr_private_segment_wavefront_offset 0
		.amdhsa_system_sgpr_workgroup_id_x 1
		.amdhsa_system_sgpr_workgroup_id_y 0
		.amdhsa_system_sgpr_workgroup_id_z 0
		.amdhsa_system_sgpr_workgroup_info 0
		.amdhsa_system_vgpr_workitem_id 0
		.amdhsa_next_free_vgpr 8
		.amdhsa_next_free_sgpr 8
		.amdhsa_reserve_vcc 1
		.amdhsa_reserve_flat_scratch 0
		.amdhsa_float_round_mode_32 0
		.amdhsa_float_round_mode_16_64 0
		.amdhsa_float_denorm_mode_32 3
		.amdhsa_float_denorm_mode_16_64 3
		.amdhsa_dx10_clamp 1
		.amdhsa_ieee_mode 1
		.amdhsa_fp16_overflow 0
		.amdhsa_workgroup_processor_mode 1
		.amdhsa_memory_ordered 1
		.amdhsa_forward_progress 1
		.amdhsa_shared_vgpr_count 0
		.amdhsa_exception_fp_ieee_invalid_op 0
		.amdhsa_exception_fp_denorm_src 0
		.amdhsa_exception_fp_ieee_div_zero 0
		.amdhsa_exception_fp_ieee_overflow 0
		.amdhsa_exception_fp_ieee_underflow 0
		.amdhsa_exception_fp_ieee_inexact 0
		.amdhsa_exception_int_div_zero 0
	.end_amdhsa_kernel
	.section	.text._ZN9rocsparseL19gpsv_strided_gatherILj256E21rocsparse_complex_numIfEEEviiiPKT0_PS3_,"axG",@progbits,_ZN9rocsparseL19gpsv_strided_gatherILj256E21rocsparse_complex_numIfEEEviiiPKT0_PS3_,comdat
.Lfunc_end6:
	.size	_ZN9rocsparseL19gpsv_strided_gatherILj256E21rocsparse_complex_numIfEEEviiiPKT0_PS3_, .Lfunc_end6-_ZN9rocsparseL19gpsv_strided_gatherILj256E21rocsparse_complex_numIfEEEviiiPKT0_PS3_
                                        ; -- End function
	.set _ZN9rocsparseL19gpsv_strided_gatherILj256E21rocsparse_complex_numIfEEEviiiPKT0_PS3_.num_vgpr, 8
	.set _ZN9rocsparseL19gpsv_strided_gatherILj256E21rocsparse_complex_numIfEEEviiiPKT0_PS3_.num_agpr, 0
	.set _ZN9rocsparseL19gpsv_strided_gatherILj256E21rocsparse_complex_numIfEEEviiiPKT0_PS3_.numbered_sgpr, 8
	.set _ZN9rocsparseL19gpsv_strided_gatherILj256E21rocsparse_complex_numIfEEEviiiPKT0_PS3_.num_named_barrier, 0
	.set _ZN9rocsparseL19gpsv_strided_gatherILj256E21rocsparse_complex_numIfEEEviiiPKT0_PS3_.private_seg_size, 0
	.set _ZN9rocsparseL19gpsv_strided_gatherILj256E21rocsparse_complex_numIfEEEviiiPKT0_PS3_.uses_vcc, 1
	.set _ZN9rocsparseL19gpsv_strided_gatherILj256E21rocsparse_complex_numIfEEEviiiPKT0_PS3_.uses_flat_scratch, 0
	.set _ZN9rocsparseL19gpsv_strided_gatherILj256E21rocsparse_complex_numIfEEEviiiPKT0_PS3_.has_dyn_sized_stack, 0
	.set _ZN9rocsparseL19gpsv_strided_gatherILj256E21rocsparse_complex_numIfEEEviiiPKT0_PS3_.has_recursion, 0
	.set _ZN9rocsparseL19gpsv_strided_gatherILj256E21rocsparse_complex_numIfEEEviiiPKT0_PS3_.has_indirect_call, 0
	.section	.AMDGPU.csdata,"",@progbits
; Kernel info:
; codeLenInByte = 232
; TotalNumSgprs: 10
; NumVgprs: 8
; ScratchSize: 0
; MemoryBound: 0
; FloatMode: 240
; IeeeMode: 1
; LDSByteSize: 0 bytes/workgroup (compile time only)
; SGPRBlocks: 0
; VGPRBlocks: 0
; NumSGPRsForWavesPerEU: 10
; NumVGPRsForWavesPerEU: 8
; Occupancy: 16
; WaveLimiterHint : 0
; COMPUTE_PGM_RSRC2:SCRATCH_EN: 0
; COMPUTE_PGM_RSRC2:USER_SGPR: 6
; COMPUTE_PGM_RSRC2:TRAP_HANDLER: 0
; COMPUTE_PGM_RSRC2:TGID_X_EN: 1
; COMPUTE_PGM_RSRC2:TGID_Y_EN: 0
; COMPUTE_PGM_RSRC2:TGID_Z_EN: 0
; COMPUTE_PGM_RSRC2:TIDIG_COMP_CNT: 0
	.section	.text._ZN9rocsparseL44gpsv_interleaved_batch_householder_qr_kernelILj256E21rocsparse_complex_numIfEEEviiiPT0_S4_S4_S4_S4_S4_S4_S4_S4_,"axG",@progbits,_ZN9rocsparseL44gpsv_interleaved_batch_householder_qr_kernelILj256E21rocsparse_complex_numIfEEEviiiPT0_S4_S4_S4_S4_S4_S4_S4_S4_,comdat
	.globl	_ZN9rocsparseL44gpsv_interleaved_batch_householder_qr_kernelILj256E21rocsparse_complex_numIfEEEviiiPT0_S4_S4_S4_S4_S4_S4_S4_S4_ ; -- Begin function _ZN9rocsparseL44gpsv_interleaved_batch_householder_qr_kernelILj256E21rocsparse_complex_numIfEEEviiiPT0_S4_S4_S4_S4_S4_S4_S4_S4_
	.p2align	8
	.type	_ZN9rocsparseL44gpsv_interleaved_batch_householder_qr_kernelILj256E21rocsparse_complex_numIfEEEviiiPT0_S4_S4_S4_S4_S4_S4_S4_S4_,@function
_ZN9rocsparseL44gpsv_interleaved_batch_householder_qr_kernelILj256E21rocsparse_complex_numIfEEEviiiPT0_S4_S4_S4_S4_S4_S4_S4_S4_: ; @_ZN9rocsparseL44gpsv_interleaved_batch_householder_qr_kernelILj256E21rocsparse_complex_numIfEEEviiiPT0_S4_S4_S4_S4_S4_S4_S4_S4_
; %bb.0:
	s_clause 0x1
	s_load_dword s0, s[4:5], 0x64
	s_load_dwordx4 s[8:11], s[4:5], 0x0
	s_waitcnt lgkmcnt(0)
	s_and_b32 s0, s0, 0xffff
	s_mul_i32 s11, s6, s0
	s_mov_b32 s0, exec_lo
	v_add_nc_u32_e32 v1, s11, v0
	v_cmpx_gt_i32_e64 s9, v1
	s_cbranch_execz .LBB7_36
; %bb.1:
	s_clause 0x3
	s_load_dwordx2 s[6:7], s[4:5], 0x50
	s_load_dwordx4 s[12:15], s[4:5], 0x40
	s_load_dwordx4 s[16:19], s[4:5], 0x20
	s_load_dwordx2 s[20:21], s[4:5], 0x30
	s_cmp_lt_i32 s8, 2
	s_cbranch_scc1 .LBB7_23
; %bb.2:
	s_load_dwordx2 s[22:23], s[4:5], 0x18
	s_add_i32 s26, s8, -2
	s_mov_b32 s1, 0
	s_cmp_eq_u32 s26, 0
	s_cbranch_scc1 .LBB7_14
; %bb.3:
	s_load_dwordx2 s[24:25], s[4:5], 0x10
	v_add_nc_u32_e32 v60, s9, v0
	v_lshl_add_u32 v61, s9, 1, v0
	v_lshl_add_u32 v62, s10, 1, v0
	v_add_nc_u32_e32 v63, s10, v0
	v_mov_b32_e32 v64, v0
	v_mov_b32_e32 v65, v0
	s_mov_b32 s27, 0
	s_branch .LBB7_6
.LBB7_4:                                ;   in Loop: Header=BB7_6 Depth=1
	s_or_b32 exec_lo, exec_lo, s2
	v_sub_f32_e32 v57, v59, v52
	v_add_f32_e32 v52, v52, v59
	v_mul_f32_e32 v57, 0.5, v57
	v_mul_f32_e32 v52, 0.5, v52
	v_mul_f32_e32 v58, 0x4f800000, v57
	v_cmp_gt_f32_e32 vcc_lo, 0xf800000, v57
	v_cmp_gt_f32_e64 s1, 0xf800000, v52
	v_cndmask_b32_e32 v57, v57, v58, vcc_lo
	v_mul_f32_e32 v58, 0x4f800000, v52
	v_sqrt_f32_e32 v59, v57
	v_cndmask_b32_e64 v52, v52, v58, s1
	v_sqrt_f32_e32 v58, v52
	v_add_nc_u32_e32 v66, -1, v59
	v_add_nc_u32_e32 v67, 1, v59
	v_fma_f32 v68, -v66, v59, v57
	v_add_nc_u32_e32 v69, -1, v58
	v_fma_f32 v70, -v67, v59, v57
	v_cmp_ge_f32_e64 s2, 0, v68
	v_add_nc_u32_e32 v68, 1, v58
	v_fma_f32 v71, -v69, v58, v52
	v_cmp_lt_f32_e64 s3, 0, v70
	v_cndmask_b32_e64 v59, v59, v66, s2
	v_fma_f32 v66, -v68, v58, v52
	v_cmp_ge_f32_e64 s2, 0, v71
	v_cndmask_b32_e64 v59, v59, v67, s3
	v_cmp_lt_f32_e64 s3, 0, v66
	v_cndmask_b32_e64 v58, v58, v69, s2
	v_cmp_class_f32_e64 s2, v57, 0x260
	v_mul_f32_e32 v66, 0x37800000, v59
	v_cndmask_b32_e64 v58, v58, v68, s3
	v_cndmask_b32_e32 v59, v59, v66, vcc_lo
	v_cmp_lt_f32_e32 vcc_lo, 0, v50
	v_mul_f32_e32 v66, 0x37800000, v58
	v_cndmask_b32_e64 v57, v59, v57, s2
	v_cmp_class_f32_e64 s2, v52, 0x260
	v_cndmask_b32_e64 v58, v58, v66, s1
	v_cndmask_b32_e64 v57, v57, -v57, s0
	v_cndmask_b32_e64 v52, v58, v52, s2
	v_add_co_u32 v58, s0, s20, v53
	v_cndmask_b32_e64 v57, -v57, v57, vcc_lo
	v_add_co_ci_u32_e64 v59, null, s21, v54, s0
	v_cndmask_b32_e64 v52, -v52, v52, vcc_lo
	v_add_f32_e32 v57, v51, v57
	v_add_f32_e32 v66, v50, v52
	v_add_co_u32 v52, vcc_lo, s18, v53
	v_mul_f32_e32 v67, v57, v57
	v_mul_f32_e64 v69, v57, -v57
	v_mul_f32_e32 v68, v66, v57
	v_add_co_ci_u32_e64 v53, null, s19, v54, vcc_lo
	v_fmac_f32_e32 v67, v66, v66
	v_fmac_f32_e32 v69, v66, v66
	;; [unrolled: 1-line block ×3, first 2 shown]
	v_div_scale_f32 v70, null, v67, v67, 1.0
	v_add_f32_e32 v55, v55, v68
	v_add_f32_e32 v54, v56, v69
	v_mul_f32_e32 v56, 0x80000000, v68
	v_rcp_f32_e32 v71, v70
	v_add_f32_e32 v68, v68, v68
	v_mul_f32_e32 v72, v55, v55
	v_div_scale_f32 v73, vcc_lo, 1.0, v67, 1.0
	v_fmac_f32_e32 v56, 2.0, v69
	v_fmac_f32_e32 v68, 0, v69
	v_fmac_f32_e32 v72, v54, v54
	v_fma_f32 v74, -v70, v71, 1.0
	v_mul_f32_e64 v75, v55, -v56
	v_div_scale_f32 v69, null, v72, v72, 1.0
	v_fmac_f32_e32 v71, v74, v71
	v_mul_f32_e32 v74, v55, v68
	v_rcp_f32_e32 v76, v69
	v_fmac_f32_e32 v75, v68, v54
	v_mul_f32_e32 v55, v73, v71
	v_fmac_f32_e32 v74, v56, v54
	v_fma_f32 v54, -v70, v55, v73
	v_fma_f32 v56, -v69, v76, 1.0
	v_fmac_f32_e32 v55, v54, v71
	v_mul_f32_e32 v54, v57, v49
	v_fmac_f32_e32 v76, v56, v76
	v_mul_f32_e64 v56, v57, -v48
	v_fma_f32 v68, -v70, v55, v73
	v_div_scale_f32 v70, s0, 1.0, v72, 1.0
	v_fmac_f32_e32 v54, v48, v66
	v_fmac_f32_e32 v56, v49, v66
	v_div_fmas_f32 v55, v68, v71, v55
	v_mul_f32_e32 v68, v45, v57
	v_mul_f32_e64 v57, v57, -v44
	v_mul_f32_e32 v71, v70, v76
	s_mov_b32 vcc_lo, s0
	v_div_fixup_f32 v73, v55, v67, 1.0
	v_fmac_f32_e32 v68, v44, v66
	v_fmac_f32_e32 v57, v45, v66
	v_fma_f32 v66, -v69, v71, v70
	v_mul_f32_e32 v54, v54, v73
	v_mul_f32_e32 v55, v56, v73
	;; [unrolled: 1-line block ×3, first 2 shown]
	v_fmac_f32_e32 v71, v66, v76
	global_load_dwordx2 v[66:67], v[46:47], off
	v_fma_f32 v50, v54, v48, v50
	v_fmac_f32_e32 v51, v55, v48
	v_mul_f32_e32 v57, v57, v73
	v_fma_f32 v70, -v69, v71, v70
	global_load_dwordx2 v[68:69], v[52:53], off
	v_fma_f32 v50, -v55, v49, v50
	v_fmac_f32_e32 v51, v54, v49
	global_load_dwordx2 v[48:49], v[58:59], off
	v_div_fmas_f32 v70, v70, v76, v71
	global_store_dwordx2 v[32:33], v[54:55], off
	v_fmac_f32_e32 v50, v56, v44
	v_fmac_f32_e32 v51, v57, v44
	global_store_dwordx2 v[30:31], v[56:57], off
	v_div_fixup_f32 v72, v70, v72, 1.0
	v_add_nc_u32_e32 v70, s11, v65
	v_fmac_f32_e32 v51, v56, v45
	v_mul_f32_e32 v73, v75, v72
	v_ashrrev_i32_e32 v71, 31, v70
	v_fma_f32 v75, -v57, v45, v50
	v_mul_f32_e32 v72, v72, v74
	v_lshlrev_b64 v[44:45], 3, v[70:71]
	v_mul_f32_e32 v74, v73, v75
	v_mul_f32_e64 v70, v73, -v51
	v_add_co_u32 v50, vcc_lo, s12, v44
	v_fmac_f32_e32 v74, v51, v72
	v_fmac_f32_e32 v70, v75, v72
	v_add_co_ci_u32_e64 v51, null, s13, v45, vcc_lo
	v_add_co_u32 v42, vcc_lo, s12, v42
	v_add_co_ci_u32_e64 v43, null, s13, v43, vcc_lo
	s_waitcnt vmcnt(2)
	v_sub_f32_e32 v66, v66, v70
	global_load_dwordx2 v[70:71], v[50:51], off
	v_sub_f32_e32 v67, v67, v74
	s_waitcnt vmcnt(2)
	v_fma_f32 v74, v55, v36, v69
	v_fma_f32 v75, v54, v36, v68
	global_store_dwordx2 v[46:47], v[66:67], off
	s_waitcnt vmcnt(1)
	v_fma_f32 v66, v55, v34, v49
	v_fma_f32 v46, v54, v34, v48
	v_fmac_f32_e32 v74, v54, v37
	v_fma_f32 v75, -v55, v37, v75
	v_fmac_f32_e32 v66, v54, v35
	v_fma_f32 v46, -v55, v35, v46
	v_fmac_f32_e32 v74, v57, v40
	v_fmac_f32_e32 v75, v56, v40
	;; [unrolled: 1-line block ×5, first 2 shown]
	v_fma_f32 v47, -v57, v41, v75
	v_fmac_f32_e32 v66, v56, v39
	v_fma_f32 v67, -v57, v39, v46
	v_mul_f32_e64 v75, v73, -v74
	v_mul_f32_e32 v76, v73, v47
	v_fmac_f32_e32 v75, v47, v72
	v_fmac_f32_e32 v76, v74, v72
	v_sub_f32_e32 v46, v68, v75
	v_sub_f32_e32 v47, v69, v76
	v_mul_f32_e64 v68, v73, -v66
	v_mul_f32_e32 v69, v73, v67
	global_store_dwordx2 v[52:53], v[46:47], off
	v_fmac_f32_e32 v68, v67, v72
	v_fmac_f32_e32 v69, v66, v72
	v_sub_f32_e32 v46, v48, v68
	v_sub_f32_e32 v47, v49, v69
	v_add_co_u32 v48, vcc_lo, s14, v44
	v_add_co_u32 v44, s0, s6, v44
	global_store_dwordx2 v[58:59], v[46:47], off
	v_fma_f32 v58, v55, v54, 0
	v_add_co_ci_u32_e64 v49, null, s15, v45, vcc_lo
	v_add_co_ci_u32_e64 v45, null, s7, v45, s0
	v_fmac_f32_e32 v58, v54, v55
	global_load_dwordx2 v[46:47], v[48:49], off
	v_fma_f32 v35, -v69, v54, v35
	v_fma_f32 v39, -v69, v56, v39
	;; [unrolled: 1-line block ×3, first 2 shown]
	v_fmac_f32_e32 v58, v57, v56
	v_fma_f32 v38, -v68, v56, v38
	v_fma_f32 v35, -v68, v55, v35
	;; [unrolled: 1-line block ×3, first 2 shown]
	v_fmac_f32_e32 v34, v69, v55
	v_fmac_f32_e32 v58, v56, v57
	;; [unrolled: 1-line block ×3, first 2 shown]
	s_waitcnt vmcnt(1)
	v_fma_f32 v67, v55, v18, v71
	v_fma_f32 v66, v54, v18, v70
	v_fmac_f32_e32 v67, v54, v19
	v_fma_f32 v66, -v55, v19, v66
	v_fmac_f32_e32 v67, v57, v26
	v_fmac_f32_e32 v66, v56, v26
	;; [unrolled: 1-line block ×3, first 2 shown]
	v_fma_f32 v66, -v57, v27, v66
	v_mul_f32_e64 v74, v73, -v67
	v_mul_f32_e32 v77, v73, v66
	v_fmac_f32_e32 v74, v66, v72
	v_fmac_f32_e32 v77, v67, v72
	global_load_dwordx2 v[66:67], v[42:43], off
	v_sub_f32_e32 v52, v70, v74
	v_sub_f32_e32 v53, v71, v77
	v_fma_f32 v18, -v74, v54, v18
	v_fma_f32 v19, -v77, v54, v19
	global_store_dwordx2 v[50:51], v[52:53], off
	v_fma_f32 v52, v54, v54, 1.0
	v_mul_f32_e32 v53, v58, v58
	global_load_dwordx2 v[50:51], v[44:45], off
	v_fmac_f32_e32 v18, v77, v55
	v_fma_f32 v19, -v74, v55, v19
	v_fma_f32 v52, -v55, v55, v52
	v_fmac_f32_e32 v52, v56, v56
	v_fma_f32 v52, -v57, v57, v52
	v_fmac_f32_e32 v53, v52, v52
	v_div_scale_f32 v59, null, v53, v53, 1.0
	v_rcp_f32_e32 v32, v59
	v_fma_f32 v33, -v59, v32, 1.0
	v_fmac_f32_e32 v32, v33, v32
	v_div_scale_f32 v33, vcc_lo, 1.0, v53, 1.0
	v_mul_f32_e32 v70, v33, v32
	v_fma_f32 v30, -v59, v70, v33
	v_fmac_f32_e32 v70, v30, v32
	global_load_dwordx2 v[30:31], v[42:43], off
	v_fma_f32 v33, -v59, v70, v33
	v_div_fmas_f32 v32, v33, v32, v70
	v_mul_f32_e32 v33, 0, v58
	v_mul_f32_e32 v58, -2.0, v58
	v_div_fixup_f32 v32, v32, v53, 1.0
	v_fmac_f32_e32 v33, 2.0, v52
	v_fmac_f32_e32 v58, 0, v52
	v_mul_f32_e32 v58, v58, v32
	s_waitcnt vmcnt(2)
	v_fma_f32 v52, v54, v66, v46
	v_fma_f32 v59, v55, v66, v47
	v_fma_f32 v52, -v55, v67, v52
	v_fmac_f32_e32 v59, v54, v67
	v_mul_f32_e32 v67, v33, v32
	v_fma_f32 v32, -v75, v54, v36
	v_fma_f32 v36, -v75, v56, v40
	v_fmac_f32_e32 v52, v56, v22
	v_fmac_f32_e32 v59, v57, v22
	s_waitcnt vmcnt(1)
	v_fma_f32 v53, v54, v16, v50
	v_fma_f32 v66, v55, v16, v51
	v_fma_f32 v33, -v76, v54, v37
	v_fma_f32 v40, -v57, v23, v52
	v_fmac_f32_e32 v59, v56, v23
	v_fma_f32 v53, -v55, v17, v53
	v_fmac_f32_e32 v66, v54, v17
	v_fma_f32 v37, -v76, v56, v41
	v_fma_f32 v33, -v75, v55, v33
	v_mul_f32_e64 v52, v73, -v59
	v_fmac_f32_e32 v53, v56, v20
	v_fmac_f32_e32 v66, v57, v20
	;; [unrolled: 1-line block ×5, first 2 shown]
	v_fma_f32 v41, -v57, v21, v53
	v_fmac_f32_e32 v66, v56, v21
	v_mul_f32_e32 v53, v73, v40
	v_fma_f32 v37, -v75, v57, v37
	global_store_dwordx2 v[2:3], v[32:33], off
	global_store_dwordx2 v[8:9], v[34:35], off
	global_store_dwordx2 v[28:29], v[36:37], off
	v_mul_f32_e64 v68, v58, -v66
	v_mul_f32_e32 v58, v58, v41
	v_fmac_f32_e32 v53, v59, v72
	v_sub_f32_e32 v2, v46, v52
	global_store_dwordx2 v[24:25], v[38:39], off
	v_fmac_f32_e32 v68, v41, v67
	v_fmac_f32_e32 v58, v66, v67
	v_sub_f32_e32 v3, v47, v53
	v_fma_f32 v24, -v74, v56, v26
	v_fma_f32 v25, -v77, v56, v27
	v_sub_f32_e32 v8, v50, v68
	v_sub_f32_e32 v9, v51, v58
	v_fma_f32 v16, -v54, v68, v16
	v_fma_f32 v17, -v55, v68, v17
	;; [unrolled: 1-line block ×4, first 2 shown]
	global_store_dwordx2 v[48:49], v[2:3], off
	global_store_dwordx2 v[44:45], v[8:9], off
	v_fma_f32 v20, -v56, v68, v20
	v_fma_f32 v21, -v57, v68, v21
	v_fmac_f32_e32 v16, v55, v58
	v_fma_f32 v17, -v54, v58, v17
	v_fmac_f32_e32 v24, v77, v57
	;; [unrolled: 2-line block ×4, first 2 shown]
	v_fma_f32 v21, -v56, v58, v21
	s_waitcnt vmcnt(0)
	v_fma_f32 v2, -v52, v54, v30
	v_fma_f32 v3, -v53, v54, v31
	v_fmac_f32_e32 v2, v53, v55
	v_fma_f32 v3, -v52, v55, v3
	global_store_dwordx2 v[4:5], v[18:19], off
	global_store_dwordx2 v[6:7], v[16:17], off
	;; [unrolled: 1-line block ×6, first 2 shown]
.LBB7_5:                                ;   in Loop: Header=BB7_6 Depth=1
	s_or_b32 exec_lo, exec_lo, s28
	v_add_nc_u32_e32 v60, s9, v60
	v_add_nc_u32_e32 v61, s9, v61
	;; [unrolled: 1-line block ×6, first 2 shown]
	s_add_i32 s27, s27, 1
	s_cmp_eq_u32 s26, s27
	s_cbranch_scc1 .LBB7_13
.LBB7_6:                                ; =>This Inner Loop Header: Depth=1
	v_add_nc_u32_e32 v2, s11, v62
	v_add_nc_u32_e32 v4, s11, v63
	v_ashrrev_i32_e32 v3, 31, v2
	v_ashrrev_i32_e32 v5, 31, v4
	v_lshlrev_b64 v[12:13], 3, v[2:3]
	v_lshlrev_b64 v[4:5], 3, v[4:5]
	s_waitcnt lgkmcnt(0)
	v_add_co_u32 v30, vcc_lo, s24, v12
	v_add_co_ci_u32_e64 v31, null, s25, v13, vcc_lo
	v_add_co_u32 v32, vcc_lo, s22, v4
	v_add_co_ci_u32_e64 v33, null, s23, v5, vcc_lo
	global_load_dwordx2 v[44:45], v[30:31], off
	global_load_dwordx2 v[48:49], v[32:33], off
	s_waitcnt vmcnt(1)
	v_mul_f32_e64 v2, v45, -v45
	v_mul_f32_e32 v55, v44, v45
	v_fmac_f32_e32 v2, v44, v44
	v_fmac_f32_e32 v55, v45, v44
	s_waitcnt vmcnt(0)
	v_fmac_f32_e32 v2, v48, v48
	v_fmac_f32_e32 v55, v49, v48
	v_fma_f32 v56, -v49, v49, v2
	v_fmac_f32_e32 v55, v48, v49
	v_cmp_neq_f32_e32 vcc_lo, 0, v56
	v_cmp_neq_f32_e64 s0, 0, v55
	s_or_b32 s0, vcc_lo, s0
	s_and_saveexec_b32 s28, s0
	s_cbranch_execz .LBB7_5
; %bb.7:                                ;   in Loop: Header=BB7_6 Depth=1
	v_add_nc_u32_e32 v6, s11, v60
	v_add_nc_u32_e32 v10, s11, v64
	v_add_co_u32 v2, vcc_lo, s16, v4
	v_add_co_ci_u32_e64 v3, null, s17, v5, vcc_lo
	v_ashrrev_i32_e32 v7, 31, v6
	v_ashrrev_i32_e32 v11, 31, v10
	v_add_co_u32 v8, vcc_lo, s18, v4
	v_add_co_ci_u32_e64 v9, null, s19, v5, vcc_lo
	v_lshlrev_b64 v[42:43], 3, v[6:7]
	v_lshlrev_b64 v[53:54], 3, v[10:11]
	v_add_co_u32 v4, vcc_lo, s20, v4
	v_add_co_ci_u32_e64 v5, null, s21, v5, vcc_lo
	v_add_co_u32 v6, vcc_lo, s6, v42
	v_add_co_ci_u32_e64 v7, null, s7, v43, vcc_lo
	;; [unrolled: 2-line block ×3, first 2 shown]
	v_add_nc_u32_e32 v14, s11, v61
	global_load_dwordx2 v[36:37], v[2:3], off
	global_load_dwordx2 v[34:35], v[8:9], off
	;; [unrolled: 1-line block ×4, first 2 shown]
	v_add_co_u32 v28, vcc_lo, s22, v12
	global_load_dwordx2 v[50:51], v[46:47], off
	v_ashrrev_i32_e32 v15, 31, v14
	v_add_co_ci_u32_e64 v29, null, s23, v13, vcc_lo
	v_add_co_u32 v24, vcc_lo, s16, v12
	v_lshlrev_b64 v[20:21], 3, v[14:15]
	v_add_co_ci_u32_e64 v25, null, s17, v13, vcc_lo
	v_add_co_u32 v10, vcc_lo, s18, v12
	v_add_co_ci_u32_e64 v11, null, s19, v13, vcc_lo
	v_add_co_u32 v14, vcc_lo, s20, v12
	;; [unrolled: 2-line block ×3, first 2 shown]
	v_add_co_ci_u32_e64 v13, null, s7, v21, vcc_lo
	global_load_dwordx2 v[40:41], v[28:29], off
	global_load_dwordx2 v[38:39], v[24:25], off
	;; [unrolled: 1-line block ×5, first 2 shown]
                                        ; implicit-def: $vgpr59
	s_mov_b32 s1, exec_lo
	s_waitcnt vmcnt(5)
	v_fma_f32 v52, v50, v50, v56
	v_fma_f32 v66, v51, v50, v55
	v_fma_f32 v52, -v51, v51, v52
	v_fmac_f32_e32 v66, v50, v51
	v_cmp_gt_f32_e32 vcc_lo, 0, v52
	v_cmp_gt_f32_e64 s0, 0, v66
	v_cndmask_b32_e64 v57, v52, -v52, vcc_lo
	v_cndmask_b32_e64 v58, v66, -v66, s0
	v_cmpx_ngt_f32_e32 v57, v58
	s_xor_b32 s2, exec_lo, s1
	s_cbranch_execz .LBB7_11
; %bb.8:                                ;   in Loop: Header=BB7_6 Depth=1
	v_mov_b32_e32 v59, 0
	s_mov_b32 s3, exec_lo
	v_cmpx_neq_f32_e32 0, v66
	s_cbranch_execz .LBB7_10
; %bb.9:                                ;   in Loop: Header=BB7_6 Depth=1
	v_div_scale_f32 v59, null, v58, v58, v57
	v_div_scale_f32 v68, vcc_lo, v57, v58, v57
	v_rcp_f32_e32 v66, v59
	v_fma_f32 v67, -v59, v66, 1.0
	v_fmac_f32_e32 v66, v67, v66
	v_mul_f32_e32 v67, v68, v66
	v_fma_f32 v69, -v59, v67, v68
	v_fmac_f32_e32 v67, v69, v66
	v_fma_f32 v59, -v59, v67, v68
	v_div_fmas_f32 v59, v59, v66, v67
	v_div_fixup_f32 v57, v59, v58, v57
	v_fma_f32 v57, v57, v57, 1.0
	v_mul_f32_e32 v59, 0x4f800000, v57
	v_cmp_gt_f32_e32 vcc_lo, 0xf800000, v57
	v_cndmask_b32_e32 v57, v57, v59, vcc_lo
	v_sqrt_f32_e32 v59, v57
	v_add_nc_u32_e32 v66, -1, v59
	v_add_nc_u32_e32 v67, 1, v59
	v_fma_f32 v68, -v66, v59, v57
	v_fma_f32 v69, -v67, v59, v57
	v_cmp_ge_f32_e64 s1, 0, v68
	v_cndmask_b32_e64 v59, v59, v66, s1
	v_cmp_lt_f32_e64 s1, 0, v69
	v_cndmask_b32_e64 v59, v59, v67, s1
	v_mul_f32_e32 v66, 0x37800000, v59
	v_cndmask_b32_e32 v59, v59, v66, vcc_lo
	v_cmp_class_f32_e64 vcc_lo, v57, 0x260
	v_cndmask_b32_e32 v57, v59, v57, vcc_lo
	v_mul_f32_e32 v59, v58, v57
.LBB7_10:                               ;   in Loop: Header=BB7_6 Depth=1
	s_or_b32 exec_lo, exec_lo, s3
                                        ; implicit-def: $vgpr57
                                        ; implicit-def: $vgpr58
.LBB7_11:                               ;   in Loop: Header=BB7_6 Depth=1
	s_andn2_saveexec_b32 s2, s2
	s_cbranch_execz .LBB7_4
; %bb.12:                               ;   in Loop: Header=BB7_6 Depth=1
	v_div_scale_f32 v59, null, v57, v57, v58
	v_div_scale_f32 v68, vcc_lo, v58, v57, v58
	v_rcp_f32_e32 v66, v59
	v_fma_f32 v67, -v59, v66, 1.0
	v_fmac_f32_e32 v66, v67, v66
	v_mul_f32_e32 v67, v68, v66
	v_fma_f32 v69, -v59, v67, v68
	v_fmac_f32_e32 v67, v69, v66
	v_fma_f32 v59, -v59, v67, v68
	v_div_fmas_f32 v59, v59, v66, v67
	v_div_fixup_f32 v58, v59, v57, v58
	v_fma_f32 v58, v58, v58, 1.0
	v_mul_f32_e32 v59, 0x4f800000, v58
	v_cmp_gt_f32_e32 vcc_lo, 0xf800000, v58
	v_cndmask_b32_e32 v58, v58, v59, vcc_lo
	v_sqrt_f32_e32 v59, v58
	v_add_nc_u32_e32 v66, -1, v59
	v_add_nc_u32_e32 v67, 1, v59
	v_fma_f32 v68, -v66, v59, v58
	v_fma_f32 v69, -v67, v59, v58
	v_cmp_ge_f32_e64 s1, 0, v68
	v_cndmask_b32_e64 v59, v59, v66, s1
	v_cmp_lt_f32_e64 s1, 0, v69
	v_cndmask_b32_e64 v59, v59, v67, s1
	v_mul_f32_e32 v66, 0x37800000, v59
	v_cndmask_b32_e32 v59, v59, v66, vcc_lo
	v_cmp_class_f32_e64 vcc_lo, v58, 0x260
	v_cndmask_b32_e32 v58, v59, v58, vcc_lo
	v_mul_f32_e32 v59, v57, v58
	s_branch .LBB7_4
.LBB7_13:
	s_mov_b32 s1, s26
.LBB7_14:
	v_mad_u64_u32 v[5:6], null, s1, s10, v[1:2]
	v_add_nc_u32_e32 v2, s10, v5
	v_ashrrev_i32_e32 v3, 31, v2
	v_lshlrev_b64 v[3:4], 3, v[2:3]
	s_waitcnt lgkmcnt(0)
	v_add_co_u32 v13, vcc_lo, s22, v3
	v_add_co_ci_u32_e64 v14, null, s23, v4, vcc_lo
	global_load_dwordx2 v[19:20], v[13:14], off
	s_waitcnt vmcnt(0)
	v_fma_f32 v2, v19, v19, 0
	v_fma_f32 v32, v20, v19, 0
	v_fma_f32 v31, -v20, v20, v2
	v_fmac_f32_e32 v32, v19, v20
	v_cmp_neq_f32_e32 vcc_lo, 0, v31
	v_cmp_neq_f32_e64 s0, 0, v32
	s_or_b32 s0, vcc_lo, s0
	s_and_saveexec_b32 s3, s0
	s_cbranch_execz .LBB7_22
; %bb.15:
	v_ashrrev_i32_e32 v6, 31, v5
	v_mad_u64_u32 v[29:30], null, s1, s9, v[1:2]
                                        ; implicit-def: $vgpr34
	s_mov_b32 s1, exec_lo
	v_lshlrev_b64 v[25:26], 3, v[5:6]
	v_add_nc_u32_e32 v1, s9, v29
	v_add_co_u32 v21, vcc_lo, s16, v25
	v_add_co_ci_u32_e64 v22, null, s17, v26, vcc_lo
	v_ashrrev_i32_e32 v2, 31, v1
	v_add_co_u32 v7, vcc_lo, s16, v3
	global_load_dwordx2 v[23:24], v[21:22], off
	v_add_co_ci_u32_e64 v8, null, s17, v4, vcc_lo
	v_lshlrev_b64 v[27:28], 3, v[1:2]
	v_add_co_u32 v9, vcc_lo, s18, v3
	v_add_co_ci_u32_e64 v10, null, s19, v4, vcc_lo
	v_add_co_u32 v3, vcc_lo, s20, v3
	v_add_co_ci_u32_e64 v4, null, s21, v4, vcc_lo
	;; [unrolled: 2-line block ×3, first 2 shown]
	global_load_dwordx2 v[17:18], v[7:8], off
	global_load_dwordx2 v[15:16], v[9:10], off
	;; [unrolled: 1-line block ×4, first 2 shown]
	s_waitcnt vmcnt(4)
	v_fma_f32 v30, v23, v23, v31
	v_fma_f32 v36, v24, v23, v32
	v_fma_f32 v33, -v24, v24, v30
	v_fmac_f32_e32 v36, v23, v24
	v_cmp_gt_f32_e32 vcc_lo, 0, v33
	v_cmp_gt_f32_e64 s0, 0, v36
	v_cndmask_b32_e64 v30, v33, -v33, vcc_lo
	v_cndmask_b32_e64 v35, v36, -v36, s0
	v_cmpx_ngt_f32_e32 v30, v35
	s_xor_b32 s2, exec_lo, s1
	s_cbranch_execz .LBB7_19
; %bb.16:
	v_mov_b32_e32 v34, 0
	s_mov_b32 s22, exec_lo
	v_cmpx_neq_f32_e32 0, v36
	s_cbranch_execz .LBB7_18
; %bb.17:
	v_div_scale_f32 v34, null, v35, v35, v30
	v_div_scale_f32 v38, vcc_lo, v30, v35, v30
	v_rcp_f32_e32 v36, v34
	v_fma_f32 v37, -v34, v36, 1.0
	v_fmac_f32_e32 v36, v37, v36
	v_mul_f32_e32 v37, v38, v36
	v_fma_f32 v39, -v34, v37, v38
	v_fmac_f32_e32 v37, v39, v36
	v_fma_f32 v34, -v34, v37, v38
	v_div_fmas_f32 v34, v34, v36, v37
	v_div_fixup_f32 v30, v34, v35, v30
	v_fma_f32 v30, v30, v30, 1.0
	v_mul_f32_e32 v34, 0x4f800000, v30
	v_cmp_gt_f32_e32 vcc_lo, 0xf800000, v30
	v_cndmask_b32_e32 v30, v30, v34, vcc_lo
	v_sqrt_f32_e32 v34, v30
	v_add_nc_u32_e32 v36, -1, v34
	v_add_nc_u32_e32 v37, 1, v34
	v_fma_f32 v38, -v36, v34, v30
	v_fma_f32 v39, -v37, v34, v30
	v_cmp_ge_f32_e64 s1, 0, v38
	v_cndmask_b32_e64 v34, v34, v36, s1
	v_cmp_lt_f32_e64 s1, 0, v39
	v_cndmask_b32_e64 v34, v34, v37, s1
	v_mul_f32_e32 v36, 0x37800000, v34
	v_cndmask_b32_e32 v34, v34, v36, vcc_lo
	v_cmp_class_f32_e64 vcc_lo, v30, 0x260
	v_cndmask_b32_e32 v30, v34, v30, vcc_lo
	v_mul_f32_e32 v34, v35, v30
.LBB7_18:
	s_or_b32 exec_lo, exec_lo, s22
                                        ; implicit-def: $vgpr30
                                        ; implicit-def: $vgpr35
.LBB7_19:
	s_andn2_saveexec_b32 s2, s2
	s_cbranch_execz .LBB7_21
; %bb.20:
	v_div_scale_f32 v34, null, v30, v30, v35
	v_div_scale_f32 v38, vcc_lo, v35, v30, v35
	v_rcp_f32_e32 v36, v34
	v_fma_f32 v37, -v34, v36, 1.0
	v_fmac_f32_e32 v36, v37, v36
	v_mul_f32_e32 v37, v38, v36
	v_fma_f32 v39, -v34, v37, v38
	v_fmac_f32_e32 v37, v39, v36
	v_fma_f32 v34, -v34, v37, v38
	v_div_fmas_f32 v34, v34, v36, v37
	v_div_fixup_f32 v34, v34, v30, v35
	v_fma_f32 v34, v34, v34, 1.0
	v_mul_f32_e32 v35, 0x4f800000, v34
	v_cmp_gt_f32_e32 vcc_lo, 0xf800000, v34
	v_cndmask_b32_e32 v34, v34, v35, vcc_lo
	v_sqrt_f32_e32 v35, v34
	v_add_nc_u32_e32 v36, -1, v35
	v_add_nc_u32_e32 v37, 1, v35
	v_fma_f32 v38, -v36, v35, v34
	v_fma_f32 v39, -v37, v35, v34
	v_cmp_ge_f32_e64 s1, 0, v38
	v_cndmask_b32_e64 v35, v35, v36, s1
	v_cmp_lt_f32_e64 s1, 0, v39
	v_cndmask_b32_e64 v35, v35, v37, s1
	v_mul_f32_e32 v36, 0x37800000, v35
	v_cndmask_b32_e32 v35, v35, v36, vcc_lo
	v_cmp_class_f32_e64 vcc_lo, v34, 0x260
	v_cndmask_b32_e32 v34, v35, v34, vcc_lo
	v_mul_f32_e32 v34, v30, v34
.LBB7_21:
	s_or_b32 exec_lo, exec_lo, s2
	v_ashrrev_i32_e32 v30, 31, v29
	v_sub_f32_e32 v39, v34, v33
	v_add_f32_e32 v33, v33, v34
	v_lshlrev_b64 v[29:30], 3, v[29:30]
	v_mul_f32_e32 v34, 0.5, v39
	v_mul_f32_e32 v33, 0.5, v33
	v_mul_f32_e32 v39, 0x4f800000, v34
	v_add_co_u32 v35, vcc_lo, s12, v29
	v_add_co_ci_u32_e64 v36, null, s13, v30, vcc_lo
	v_cmp_gt_f32_e32 vcc_lo, 0xf800000, v34
	v_mul_f32_e32 v40, 0x4f800000, v33
	v_cmp_gt_f32_e64 s1, 0xf800000, v33
	global_load_dwordx2 v[37:38], v[35:36], off
	v_cndmask_b32_e32 v34, v34, v39, vcc_lo
	v_cndmask_b32_e64 v33, v33, v40, s1
	v_sqrt_f32_e32 v39, v34
	v_sqrt_f32_e32 v40, v33
	v_add_nc_u32_e32 v41, -1, v39
	v_add_nc_u32_e32 v43, 1, v39
	v_add_nc_u32_e32 v42, -1, v40
	v_add_nc_u32_e32 v45, 1, v40
	v_fma_f32 v44, -v41, v39, v34
	v_fma_f32 v47, -v43, v39, v34
	;; [unrolled: 1-line block ×3, first 2 shown]
	v_cmp_ge_f32_e64 s2, 0, v44
	v_cndmask_b32_e64 v39, v39, v41, s2
	v_cmp_ge_f32_e64 s2, 0, v46
	v_fma_f32 v41, -v45, v40, v33
	v_cndmask_b32_e64 v40, v40, v42, s2
	v_cmp_lt_f32_e64 s2, 0, v47
	v_cndmask_b32_e64 v39, v39, v43, s2
	v_cmp_lt_f32_e64 s2, 0, v41
	v_mul_f32_e32 v41, 0x37800000, v39
	v_cndmask_b32_e64 v40, v40, v45, s2
	v_cndmask_b32_e32 v39, v39, v41, vcc_lo
	v_mul_f32_e32 v42, 0x37800000, v40
	v_cmp_class_f32_e64 vcc_lo, v34, 0x260
	v_cndmask_b32_e64 v40, v40, v42, s1
	v_cndmask_b32_e32 v34, v39, v34, vcc_lo
	v_cmp_class_f32_e64 vcc_lo, v33, 0x260
	v_cndmask_b32_e64 v34, v34, -v34, s0
	v_cndmask_b32_e32 v33, v40, v33, vcc_lo
	v_cmp_lt_f32_e32 vcc_lo, 0, v23
	v_cndmask_b32_e64 v34, -v34, v34, vcc_lo
	v_cndmask_b32_e64 v33, -v33, v33, vcc_lo
	v_add_f32_e32 v51, v24, v34
	v_add_f32_e32 v52, v23, v33
	v_add_co_u32 v33, vcc_lo, s18, v25
	v_add_co_ci_u32_e64 v34, null, s19, v26, vcc_lo
	v_mul_f32_e32 v53, v51, v51
	v_mul_f32_e32 v54, v52, v51
	v_mul_f32_e64 v55, v51, -v51
	v_add_co_u32 v27, vcc_lo, s12, v27
	v_fmac_f32_e32 v53, v52, v52
	v_fmac_f32_e32 v54, v51, v52
	;; [unrolled: 1-line block ×3, first 2 shown]
	v_add_co_ci_u32_e64 v28, null, s13, v28, vcc_lo
	v_div_scale_f32 v56, null, v53, v53, 1.0
	v_add_f32_e32 v57, v32, v54
	v_add_f32_e32 v59, v31, v55
	v_add_co_u32 v25, vcc_lo, s20, v25
	v_rcp_f32_e32 v58, v56
	v_mul_f32_e32 v60, v57, v57
	v_add_co_ci_u32_e64 v26, null, s21, v26, vcc_lo
	v_add_co_u32 v31, vcc_lo, s14, v29
	v_fmac_f32_e32 v60, v59, v59
	v_add_co_ci_u32_e64 v32, null, s15, v30, vcc_lo
	v_div_scale_f32 v61, vcc_lo, 1.0, v53, 1.0
	v_fma_f32 v43, -v56, v58, 1.0
	v_div_scale_f32 v62, null, v60, v60, 1.0
	v_add_co_u32 v29, s0, s6, v29
	v_fmac_f32_e32 v58, v43, v58
	v_rcp_f32_e32 v63, v62
	v_add_co_ci_u32_e64 v30, null, s7, v30, s0
	v_mul_f32_e32 v65, v51, v20
	v_mul_f32_e32 v64, v61, v58
	v_mul_f32_e64 v67, v51, -v19
	v_mul_f32_e32 v68, 0, v51
	v_mul_f32_e32 v70, 0x80000000, v51
	v_fmac_f32_e32 v65, v19, v52
	v_fma_f32 v66, -v56, v64, v61
	v_fma_f32 v69, -v62, v63, 1.0
	v_fmac_f32_e32 v67, v20, v52
	v_fmac_f32_e32 v68, 0, v52
	;; [unrolled: 1-line block ×4, first 2 shown]
	v_div_scale_f32 v66, s0, 1.0, v60, 1.0
	v_fmac_f32_e32 v63, v69, v63
	global_load_dwordx2 v[39:40], v[21:22], off
	global_load_dwordx2 v[41:42], v[33:34], off
	v_fma_f32 v51, -v56, v64, v61
	v_mul_f32_e32 v56, 0x80000000, v54
	global_load_dwordx2 v[43:44], v[25:26], off
	v_mul_f32_e32 v61, v66, v63
	v_add_f32_e32 v54, v54, v54
	v_div_fmas_f32 v51, v51, v58, v64
	v_fmac_f32_e32 v56, 2.0, v55
	s_mov_b32 vcc_lo, s0
	v_fma_f32 v58, -v62, v61, v66
	v_fmac_f32_e32 v54, 0, v55
	v_div_fixup_f32 v53, v51, v53, 1.0
	v_mul_f32_e64 v55, v57, -v56
	global_load_dwordx2 v[45:46], v[27:28], off
	global_load_dwordx2 v[47:48], v[31:32], off
	;; [unrolled: 1-line block ×3, first 2 shown]
	v_fmac_f32_e32 v61, v58, v63
	v_mul_f32_e32 v57, v57, v54
	v_mul_f32_e32 v52, v67, v53
	;; [unrolled: 1-line block ×4, first 2 shown]
	v_fma_f32 v62, -v62, v61, v66
	v_mul_f32_e32 v53, v70, v53
	v_fmac_f32_e32 v55, v54, v59
	v_fmac_f32_e32 v57, v56, v59
	;; [unrolled: 1-line block ×3, first 2 shown]
	v_div_fmas_f32 v61, v62, v63, v61
	v_fma_f32 v19, v51, v19, v23
	global_store_dwordx2 v[13:14], v[51:52], off
	v_fmac_f32_e32 v24, v51, v20
	v_div_fixup_f32 v54, v61, v60, 1.0
	v_fma_f32 v19, -v52, v20, v19
	v_fmac_f32_e32 v24, 0, v53
	v_mul_f32_e32 v55, v55, v54
	v_mul_f32_e32 v54, v54, v57
	v_fmac_f32_e32 v19, 0, v58
	v_fmac_f32_e32 v24, 0, v58
	;; [unrolled: 1-line block ×3, first 2 shown]
	s_waitcnt vmcnt(6)
	v_fma_f32 v64, v52, v11, v38
	v_fma_f32 v65, v51, v11, v37
	v_fmac_f32_e32 v64, v51, v12
	v_fma_f32 v62, -v52, v12, v65
	v_fmac_f32_e32 v64, 0, v53
	v_fmac_f32_e32 v62, 0, v58
	;; [unrolled: 1-line block ×4, first 2 shown]
	v_mul_f32_e64 v56, v55, -v64
	v_mul_f32_e32 v57, v55, v62
	v_fmac_f32_e32 v56, v62, v54
	v_fmac_f32_e32 v57, v64, v54
	v_sub_f32_e32 v37, v37, v56
	v_sub_f32_e32 v38, v38, v57
	v_fma_f32 v11, -v56, v51, v11
	v_fma_f32 v12, -v57, v51, v12
	global_store_dwordx2 v[35:36], v[37:38], off
	global_load_dwordx2 v[35:36], v[27:28], off
	v_fma_f32 v37, v52, v51, 0
	v_fma_f32 v38, v51, v51, 1.0
	v_fmac_f32_e32 v11, v57, v52
	v_fma_f32 v12, -v56, v52, v12
	v_fmac_f32_e32 v37, v51, v52
	v_fma_f32 v38, -v52, v52, v38
	v_fmac_f32_e32 v37, v53, v58
	v_fmac_f32_e32 v38, v58, v58
	v_fmac_f32_e32 v37, v58, v53
	v_fma_f32 v38, -v53, v53, v38
	v_mul_f32_e32 v59, v37, v37
	v_fmac_f32_e32 v59, v38, v38
	v_div_scale_f32 v60, null, v59, v59, 1.0
	v_div_scale_f32 v63, vcc_lo, 1.0, v59, 1.0
	v_rcp_f32_e32 v61, v60
	v_fma_f32 v62, -v60, v61, 1.0
	v_fmac_f32_e32 v61, v62, v61
	v_mul_f32_e32 v62, v63, v61
	v_fma_f32 v23, -v60, v62, v63
	v_fmac_f32_e32 v62, v23, v61
	v_mul_f32_e32 v23, 0, v37
	v_mul_f32_e32 v37, -2.0, v37
	v_fma_f32 v20, -v60, v62, v63
	v_mul_f32_e64 v60, v55, -v24
	v_fmac_f32_e32 v23, 2.0, v38
	v_fmac_f32_e32 v37, 0, v38
	v_div_fmas_f32 v20, v20, v61, v62
	v_mul_f32_e32 v61, v55, v19
	v_fmac_f32_e32 v60, v19, v54
	v_div_fixup_f32 v20, v20, v59, 1.0
	v_fmac_f32_e32 v61, v24, v54
	v_mul_f32_e32 v23, v23, v20
	v_mul_f32_e32 v24, v37, v20
	s_waitcnt vmcnt(6)
	v_sub_f32_e32 v13, v39, v60
	s_waitcnt vmcnt(5)
	v_fma_f32 v20, v52, v17, v42
	v_fma_f32 v19, v51, v17, v41
	v_sub_f32_e32 v14, v40, v61
	s_waitcnt vmcnt(4)
	v_fma_f32 v37, v51, v15, v43
	v_fma_f32 v38, v52, v15, v44
	v_fmac_f32_e32 v20, v51, v18
	v_fma_f32 v19, -v52, v18, v19
	global_store_dwordx2 v[21:22], v[13:14], off
	v_fma_f32 v37, -v52, v16, v37
	v_fmac_f32_e32 v38, v51, v16
	v_fmac_f32_e32 v20, 0, v53
	;; [unrolled: 1-line block ×3, first 2 shown]
	s_waitcnt vmcnt(2)
	v_fma_f32 v13, v51, v45, v47
	v_fma_f32 v21, v52, v45, v48
	s_waitcnt vmcnt(1)
	v_fma_f32 v22, v52, v5, v50
	v_fmac_f32_e32 v37, 0, v58
	v_fmac_f32_e32 v38, 0, v53
	v_fma_f32 v14, v51, v5, v49
	v_fma_f32 v39, -v52, v46, v13
	v_fmac_f32_e32 v21, v51, v46
	v_fmac_f32_e32 v20, 0, v58
	;; [unrolled: 1-line block ×6, first 2 shown]
	v_fma_f32 v40, -v52, v6, v14
	v_fmac_f32_e32 v39, 0, v58
	v_fmac_f32_e32 v21, 0, v53
	v_mul_f32_e64 v45, v55, -v20
	v_fmac_f32_e32 v22, 0, v53
	v_mul_f32_e32 v46, v55, v19
	v_mul_f32_e64 v59, v55, -v38
	v_mul_f32_e32 v60, v55, v37
	v_fmac_f32_e32 v40, 0, v58
	v_fmac_f32_e32 v39, 0x80000000, v53
	;; [unrolled: 1-line block ×9, first 2 shown]
	v_mul_f32_e64 v37, v55, -v21
	v_mul_f32_e32 v38, v55, v39
	v_sub_f32_e32 v13, v41, v45
	v_mul_f32_e64 v41, v24, -v22
	v_fma_f32 v17, -v45, v51, v17
	v_fma_f32 v18, -v46, v51, v18
	v_fma_f32 v15, -v59, v51, v15
	v_fma_f32 v16, -v60, v51, v16
	v_mul_f32_e32 v24, v24, v40
	v_sub_f32_e32 v14, v42, v46
	v_fmac_f32_e32 v37, v39, v54
	v_fmac_f32_e32 v38, v21, v54
	v_sub_f32_e32 v19, v43, v59
	v_sub_f32_e32 v20, v44, v60
	v_fmac_f32_e32 v41, v40, v23
	v_fmac_f32_e32 v17, v46, v52
	v_fma_f32 v18, -v45, v52, v18
	v_fmac_f32_e32 v15, v60, v52
	v_fma_f32 v16, -v59, v52, v16
	v_fmac_f32_e32 v24, v22, v23
	global_store_dwordx2 v[33:34], v[13:14], off
	global_store_dwordx2 v[25:26], v[19:20], off
	v_fma_f32 v5, -v51, v41, v5
	v_fma_f32 v6, -v52, v41, v6
	global_store_dwordx2 v[7:8], v[17:18], off
	global_store_dwordx2 v[9:10], v[15:16], off
	v_sub_f32_e32 v7, v47, v37
	v_sub_f32_e32 v8, v48, v38
	;; [unrolled: 1-line block ×4, first 2 shown]
	v_fmac_f32_e32 v5, v52, v24
	v_fma_f32 v6, -v51, v24, v6
	s_waitcnt vmcnt(0)
	v_fma_f32 v13, -v37, v51, v35
	v_fma_f32 v14, -v38, v51, v36
	v_fmac_f32_e32 v13, v38, v52
	v_fma_f32 v14, -v37, v52, v14
	global_store_dwordx2 v[31:32], v[7:8], off
	global_store_dwordx2 v[29:30], v[9:10], off
	;; [unrolled: 1-line block ×5, first 2 shown]
.LBB7_22:
	s_or_b32 exec_lo, exec_lo, s3
.LBB7_23:
	s_cmp_lt_i32 s8, 1
	s_cbranch_scc1 .LBB7_36
; %bb.24:
	v_mad_u64_u32 v[1:2], null, s10, s8, v[0:1]
	s_load_dwordx2 s[0:1], s[4:5], 0x38
	s_add_i32 s2, s8, 3
	v_mad_u64_u32 v[2:3], null, s10, s2, v[0:1]
	s_add_i32 s2, s8, 2
	v_mad_u64_u32 v[3:4], null, s10, s2, v[0:1]
	;; [unrolled: 2-line block ×3, first 2 shown]
	s_add_i32 s2, s8, -1
	v_mad_u64_u32 v[5:6], null, s10, s2, v[0:1]
	v_mad_u64_u32 v[6:7], null, s9, s2, v[0:1]
	s_mov_b32 s2, s8
	s_branch .LBB7_26
.LBB7_25:                               ;   in Loop: Header=BB7_26 Depth=1
	v_lshlrev_b64 v[7:8], 3, v[7:8]
	v_subrev_nc_u32_e32 v1, s10, v1
	v_subrev_nc_u32_e32 v2, s10, v2
	;; [unrolled: 1-line block ×5, first 2 shown]
	s_waitcnt lgkmcnt(0)
	v_add_co_u32 v12, vcc_lo, s16, v7
	v_add_co_ci_u32_e64 v13, null, s17, v8, vcc_lo
	v_add_co_u32 v9, vcc_lo, s6, v9
	v_add_co_ci_u32_e64 v10, null, s7, v10, vcc_lo
	global_load_dwordx2 v[12:13], v[12:13], off
	v_subrev_nc_u32_e32 v6, s9, v6
	s_add_i32 s3, s2, -1
	global_load_dwordx2 v[9:10], v[9:10], off
	s_cmp_gt_u32 s2, 1
	s_mov_b32 s2, s3
	s_waitcnt vmcnt(1)
	v_mul_f32_e32 v14, v13, v13
	s_waitcnt vmcnt(0)
	v_sub_f32_e32 v0, v10, v0
	v_sub_f32_e32 v9, v9, v11
	v_fmac_f32_e32 v14, v12, v12
	v_mul_f32_e32 v11, v13, v0
	v_mul_f32_e64 v13, v13, -v9
	v_div_scale_f32 v15, null, v14, v14, 1.0
	v_div_scale_f32 v18, vcc_lo, 1.0, v14, 1.0
	v_fmac_f32_e32 v11, v9, v12
	v_rcp_f32_e32 v16, v15
	v_fmac_f32_e32 v13, v0, v12
	v_fma_f32 v17, -v15, v16, 1.0
	v_fmac_f32_e32 v16, v17, v16
	v_mul_f32_e32 v17, v18, v16
	v_fma_f32 v19, -v15, v17, v18
	v_fmac_f32_e32 v17, v19, v16
	v_fma_f32 v10, -v15, v17, v18
	v_div_fmas_f32 v10, v10, v16, v17
	v_add_co_u32 v7, vcc_lo, s0, v7
	v_add_co_ci_u32_e64 v8, null, s1, v8, vcc_lo
	v_div_fixup_f32 v0, v10, v14, 1.0
	v_mul_f32_e32 v9, v0, v11
	v_mul_f32_e32 v10, v13, v0
	global_store_dwordx2 v[7:8], v[9:10], off
	s_cbranch_scc0 .LBB7_36
.LBB7_26:                               ; =>This Inner Loop Header: Depth=1
	v_add_nc_u32_e32 v7, s11, v5
	v_mov_b32_e32 v0, 0
	v_mov_b32_e32 v11, 0
	s_cmp_ge_i32 s2, s8
	v_ashrrev_i32_e32 v8, 31, v7
	s_cbranch_scc1 .LBB7_28
; %bb.27:                               ;   in Loop: Header=BB7_26 Depth=1
	v_add_nc_u32_e32 v9, s11, v1
	v_lshlrev_b64 v[11:12], 3, v[7:8]
	v_ashrrev_i32_e32 v10, 31, v9
	s_waitcnt lgkmcnt(0)
	v_add_co_u32 v11, vcc_lo, s18, v11
	v_add_co_ci_u32_e64 v12, null, s19, v12, vcc_lo
	v_lshlrev_b64 v[9:10], 3, v[9:10]
	v_add_co_u32 v9, vcc_lo, s0, v9
	v_add_co_ci_u32_e64 v10, null, s1, v10, vcc_lo
	global_load_dwordx2 v[11:12], v[11:12], off
	global_load_dwordx2 v[9:10], v[9:10], off
	s_waitcnt vmcnt(0)
	v_mul_f32_e64 v0, v10, -v12
	v_mul_f32_e32 v10, v10, v11
	v_fmac_f32_e32 v0, v11, v9
	v_fmac_f32_e32 v10, v12, v9
	v_add_f32_e32 v11, 0, v0
	v_add_f32_e32 v0, 0, v10
.LBB7_28:                               ;   in Loop: Header=BB7_26 Depth=1
	s_add_i32 s3, s2, 1
	s_cmp_ge_i32 s3, s8
	s_cbranch_scc1 .LBB7_30
; %bb.29:                               ;   in Loop: Header=BB7_26 Depth=1
	v_add_nc_u32_e32 v9, s11, v4
	v_lshlrev_b64 v[12:13], 3, v[7:8]
	v_ashrrev_i32_e32 v10, 31, v9
	s_waitcnt lgkmcnt(0)
	v_add_co_u32 v12, vcc_lo, s20, v12
	v_add_co_ci_u32_e64 v13, null, s21, v13, vcc_lo
	v_lshlrev_b64 v[9:10], 3, v[9:10]
	v_add_co_u32 v9, vcc_lo, s0, v9
	v_add_co_ci_u32_e64 v10, null, s1, v10, vcc_lo
	global_load_dwordx2 v[12:13], v[12:13], off
	global_load_dwordx2 v[9:10], v[9:10], off
	s_waitcnt vmcnt(0)
	v_mul_f32_e64 v14, v10, -v13
	v_mul_f32_e32 v10, v10, v12
	v_fmac_f32_e32 v14, v12, v9
	v_fmac_f32_e32 v10, v13, v9
	v_add_f32_e32 v11, v11, v14
	v_add_f32_e32 v0, v0, v10
.LBB7_30:                               ;   in Loop: Header=BB7_26 Depth=1
	v_add_nc_u32_e32 v9, s11, v6
	s_add_i32 s3, s3, 1
	s_mov_b32 s4, -1
	s_cmp_lt_i32 s3, s8
	s_cbranch_scc0 .LBB7_33
; %bb.31:                               ;   in Loop: Header=BB7_26 Depth=1
	s_andn2_b32 vcc_lo, exec_lo, s4
	s_cbranch_vccz .LBB7_34
.LBB7_32:                               ;   in Loop: Header=BB7_26 Depth=1
	v_lshlrev_b64 v[9:10], 3, v[9:10]
	s_add_i32 s3, s3, 1
	s_cmp_ge_i32 s3, s8
	s_cbranch_scc1 .LBB7_25
	s_branch .LBB7_35
.LBB7_33:                               ;   in Loop: Header=BB7_26 Depth=1
	v_ashrrev_i32_e32 v10, 31, v9
	s_cbranch_execnz .LBB7_32
.LBB7_34:                               ;   in Loop: Header=BB7_26 Depth=1
	v_add_nc_u32_e32 v12, s11, v3
	v_ashrrev_i32_e32 v10, 31, v9
	v_ashrrev_i32_e32 v13, 31, v12
	v_lshlrev_b64 v[14:15], 3, v[9:10]
	v_lshlrev_b64 v[12:13], 3, v[12:13]
	s_waitcnt lgkmcnt(0)
	v_add_co_u32 v14, vcc_lo, s12, v14
	v_add_co_ci_u32_e64 v15, null, s13, v15, vcc_lo
	v_add_co_u32 v12, vcc_lo, s0, v12
	v_add_co_ci_u32_e64 v13, null, s1, v13, vcc_lo
	global_load_dwordx2 v[14:15], v[14:15], off
	global_load_dwordx2 v[12:13], v[12:13], off
	s_waitcnt vmcnt(0)
	v_mul_f32_e64 v16, v13, -v15
	v_mul_f32_e32 v13, v13, v14
	v_fmac_f32_e32 v16, v14, v12
	v_fmac_f32_e32 v13, v15, v12
	v_add_f32_e32 v11, v11, v16
	v_add_f32_e32 v0, v0, v13
	v_lshlrev_b64 v[9:10], 3, v[9:10]
	s_add_i32 s3, s3, 1
	s_cmp_ge_i32 s3, s8
	s_cbranch_scc1 .LBB7_25
.LBB7_35:                               ;   in Loop: Header=BB7_26 Depth=1
	v_add_nc_u32_e32 v12, s11, v2
	s_waitcnt lgkmcnt(0)
	v_add_co_u32 v14, vcc_lo, s14, v9
	v_add_co_ci_u32_e64 v15, null, s15, v10, vcc_lo
	v_ashrrev_i32_e32 v13, 31, v12
	v_lshlrev_b64 v[12:13], 3, v[12:13]
	v_add_co_u32 v12, vcc_lo, s0, v12
	v_add_co_ci_u32_e64 v13, null, s1, v13, vcc_lo
	global_load_dwordx2 v[14:15], v[14:15], off
	global_load_dwordx2 v[12:13], v[12:13], off
	s_waitcnt vmcnt(0)
	v_mul_f32_e64 v16, v13, -v15
	v_mul_f32_e32 v13, v13, v14
	v_fmac_f32_e32 v16, v14, v12
	v_fmac_f32_e32 v13, v15, v12
	v_add_f32_e32 v11, v11, v16
	v_add_f32_e32 v0, v0, v13
	s_branch .LBB7_25
.LBB7_36:
	s_endpgm
	.section	.rodata,"a",@progbits
	.p2align	6, 0x0
	.amdhsa_kernel _ZN9rocsparseL44gpsv_interleaved_batch_householder_qr_kernelILj256E21rocsparse_complex_numIfEEEviiiPT0_S4_S4_S4_S4_S4_S4_S4_S4_
		.amdhsa_group_segment_fixed_size 0
		.amdhsa_private_segment_fixed_size 0
		.amdhsa_kernarg_size 344
		.amdhsa_user_sgpr_count 6
		.amdhsa_user_sgpr_private_segment_buffer 1
		.amdhsa_user_sgpr_dispatch_ptr 0
		.amdhsa_user_sgpr_queue_ptr 0
		.amdhsa_user_sgpr_kernarg_segment_ptr 1
		.amdhsa_user_sgpr_dispatch_id 0
		.amdhsa_user_sgpr_flat_scratch_init 0
		.amdhsa_user_sgpr_private_segment_size 0
		.amdhsa_wavefront_size32 1
		.amdhsa_uses_dynamic_stack 0
		.amdhsa_system_sgpr_private_segment_wavefront_offset 0
		.amdhsa_system_sgpr_workgroup_id_x 1
		.amdhsa_system_sgpr_workgroup_id_y 0
		.amdhsa_system_sgpr_workgroup_id_z 0
		.amdhsa_system_sgpr_workgroup_info 0
		.amdhsa_system_vgpr_workitem_id 0
		.amdhsa_next_free_vgpr 78
		.amdhsa_next_free_sgpr 29
		.amdhsa_reserve_vcc 1
		.amdhsa_reserve_flat_scratch 0
		.amdhsa_float_round_mode_32 0
		.amdhsa_float_round_mode_16_64 0
		.amdhsa_float_denorm_mode_32 3
		.amdhsa_float_denorm_mode_16_64 3
		.amdhsa_dx10_clamp 1
		.amdhsa_ieee_mode 1
		.amdhsa_fp16_overflow 0
		.amdhsa_workgroup_processor_mode 1
		.amdhsa_memory_ordered 1
		.amdhsa_forward_progress 1
		.amdhsa_shared_vgpr_count 0
		.amdhsa_exception_fp_ieee_invalid_op 0
		.amdhsa_exception_fp_denorm_src 0
		.amdhsa_exception_fp_ieee_div_zero 0
		.amdhsa_exception_fp_ieee_overflow 0
		.amdhsa_exception_fp_ieee_underflow 0
		.amdhsa_exception_fp_ieee_inexact 0
		.amdhsa_exception_int_div_zero 0
	.end_amdhsa_kernel
	.section	.text._ZN9rocsparseL44gpsv_interleaved_batch_householder_qr_kernelILj256E21rocsparse_complex_numIfEEEviiiPT0_S4_S4_S4_S4_S4_S4_S4_S4_,"axG",@progbits,_ZN9rocsparseL44gpsv_interleaved_batch_householder_qr_kernelILj256E21rocsparse_complex_numIfEEEviiiPT0_S4_S4_S4_S4_S4_S4_S4_S4_,comdat
.Lfunc_end7:
	.size	_ZN9rocsparseL44gpsv_interleaved_batch_householder_qr_kernelILj256E21rocsparse_complex_numIfEEEviiiPT0_S4_S4_S4_S4_S4_S4_S4_S4_, .Lfunc_end7-_ZN9rocsparseL44gpsv_interleaved_batch_householder_qr_kernelILj256E21rocsparse_complex_numIfEEEviiiPT0_S4_S4_S4_S4_S4_S4_S4_S4_
                                        ; -- End function
	.set _ZN9rocsparseL44gpsv_interleaved_batch_householder_qr_kernelILj256E21rocsparse_complex_numIfEEEviiiPT0_S4_S4_S4_S4_S4_S4_S4_S4_.num_vgpr, 78
	.set _ZN9rocsparseL44gpsv_interleaved_batch_householder_qr_kernelILj256E21rocsparse_complex_numIfEEEviiiPT0_S4_S4_S4_S4_S4_S4_S4_S4_.num_agpr, 0
	.set _ZN9rocsparseL44gpsv_interleaved_batch_householder_qr_kernelILj256E21rocsparse_complex_numIfEEEviiiPT0_S4_S4_S4_S4_S4_S4_S4_S4_.numbered_sgpr, 29
	.set _ZN9rocsparseL44gpsv_interleaved_batch_householder_qr_kernelILj256E21rocsparse_complex_numIfEEEviiiPT0_S4_S4_S4_S4_S4_S4_S4_S4_.num_named_barrier, 0
	.set _ZN9rocsparseL44gpsv_interleaved_batch_householder_qr_kernelILj256E21rocsparse_complex_numIfEEEviiiPT0_S4_S4_S4_S4_S4_S4_S4_S4_.private_seg_size, 0
	.set _ZN9rocsparseL44gpsv_interleaved_batch_householder_qr_kernelILj256E21rocsparse_complex_numIfEEEviiiPT0_S4_S4_S4_S4_S4_S4_S4_S4_.uses_vcc, 1
	.set _ZN9rocsparseL44gpsv_interleaved_batch_householder_qr_kernelILj256E21rocsparse_complex_numIfEEEviiiPT0_S4_S4_S4_S4_S4_S4_S4_S4_.uses_flat_scratch, 0
	.set _ZN9rocsparseL44gpsv_interleaved_batch_householder_qr_kernelILj256E21rocsparse_complex_numIfEEEviiiPT0_S4_S4_S4_S4_S4_S4_S4_S4_.has_dyn_sized_stack, 0
	.set _ZN9rocsparseL44gpsv_interleaved_batch_householder_qr_kernelILj256E21rocsparse_complex_numIfEEEviiiPT0_S4_S4_S4_S4_S4_S4_S4_S4_.has_recursion, 0
	.set _ZN9rocsparseL44gpsv_interleaved_batch_householder_qr_kernelILj256E21rocsparse_complex_numIfEEEviiiPT0_S4_S4_S4_S4_S4_S4_S4_S4_.has_indirect_call, 0
	.section	.AMDGPU.csdata,"",@progbits
; Kernel info:
; codeLenInByte = 6236
; TotalNumSgprs: 31
; NumVgprs: 78
; ScratchSize: 0
; MemoryBound: 0
; FloatMode: 240
; IeeeMode: 1
; LDSByteSize: 0 bytes/workgroup (compile time only)
; SGPRBlocks: 0
; VGPRBlocks: 9
; NumSGPRsForWavesPerEU: 31
; NumVGPRsForWavesPerEU: 78
; Occupancy: 12
; WaveLimiterHint : 0
; COMPUTE_PGM_RSRC2:SCRATCH_EN: 0
; COMPUTE_PGM_RSRC2:USER_SGPR: 6
; COMPUTE_PGM_RSRC2:TRAP_HANDLER: 0
; COMPUTE_PGM_RSRC2:TGID_X_EN: 1
; COMPUTE_PGM_RSRC2:TGID_Y_EN: 0
; COMPUTE_PGM_RSRC2:TGID_Z_EN: 0
; COMPUTE_PGM_RSRC2:TIDIG_COMP_CNT: 0
	.section	.text._ZN9rocsparseL39gpsv_interleaved_batch_givens_qr_kernelILj128E21rocsparse_complex_numIfEEEviiiPT0_S4_S4_S4_S4_S4_S4_S4_,"axG",@progbits,_ZN9rocsparseL39gpsv_interleaved_batch_givens_qr_kernelILj128E21rocsparse_complex_numIfEEEviiiPT0_S4_S4_S4_S4_S4_S4_S4_,comdat
	.globl	_ZN9rocsparseL39gpsv_interleaved_batch_givens_qr_kernelILj128E21rocsparse_complex_numIfEEEviiiPT0_S4_S4_S4_S4_S4_S4_S4_ ; -- Begin function _ZN9rocsparseL39gpsv_interleaved_batch_givens_qr_kernelILj128E21rocsparse_complex_numIfEEEviiiPT0_S4_S4_S4_S4_S4_S4_S4_
	.p2align	8
	.type	_ZN9rocsparseL39gpsv_interleaved_batch_givens_qr_kernelILj128E21rocsparse_complex_numIfEEEviiiPT0_S4_S4_S4_S4_S4_S4_S4_,@function
_ZN9rocsparseL39gpsv_interleaved_batch_givens_qr_kernelILj128E21rocsparse_complex_numIfEEEviiiPT0_S4_S4_S4_S4_S4_S4_S4_: ; @_ZN9rocsparseL39gpsv_interleaved_batch_givens_qr_kernelILj128E21rocsparse_complex_numIfEEEviiiPT0_S4_S4_S4_S4_S4_S4_S4_
; %bb.0:
	s_load_dwordx4 s[16:19], s[4:5], 0x0
	s_lshl_b32 s1, s6, 7
	s_mov_b32 s0, exec_lo
	v_or_b32_e32 v1, s1, v0
	s_waitcnt lgkmcnt(0)
	v_cmpx_gt_i32_e64 s17, v1
	s_cbranch_execz .LBB8_25
; %bb.1:
	s_clause 0x2
	s_load_dwordx2 s[2:3], s[4:5], 0x48
	s_load_dwordx4 s[20:23], s[4:5], 0x38
	s_load_dwordx8 s[8:15], s[4:5], 0x18
	s_add_i32 s6, s16, -2
	s_cmp_lt_i32 s16, 3
	s_cbranch_scc1 .LBB8_16
; %bb.2:
	s_load_dwordx2 s[4:5], s[4:5], 0x10
	v_mov_b32_e32 v15, v1
	v_mov_b32_e32 v17, v1
	s_lshl_b32 s7, s18, 1
	s_mov_b32 s19, s6
	s_branch .LBB8_4
.LBB8_3:                                ;   in Loop: Header=BB8_4 Depth=1
	s_or_b32 exec_lo, exec_lo, s24
	v_mul_f32_e32 v18, 0x4f800000, v19
	v_cmp_gt_f32_e32 vcc_lo, 0xf800000, v19
	s_add_i32 s19, s19, -1
	s_cmp_eq_u32 s19, 0
	v_cndmask_b32_e32 v18, v19, v18, vcc_lo
	v_sqrt_f32_e32 v19, v18
	v_add_nc_u32_e32 v20, -1, v19
	v_add_nc_u32_e32 v21, 1, v19
	v_fma_f32 v22, -v20, v19, v18
	v_fma_f32 v49, -v21, v19, v18
	v_cmp_ge_f32_e64 s0, 0, v22
	v_cndmask_b32_e64 v19, v19, v20, s0
	v_cmp_lt_f32_e64 s0, 0, v49
	v_cndmask_b32_e64 v19, v19, v21, s0
	v_mul_f32_e32 v20, 0x37800000, v19
	v_cndmask_b32_e32 v19, v19, v20, vcc_lo
	v_cmp_class_f32_e64 vcc_lo, v18, 0x260
	v_cndmask_b32_e32 v18, v19, v18, vcc_lo
	v_fma_f32 v19, v18, v18, 0
	v_div_scale_f32 v20, null, v19, v19, 1.0
	v_div_scale_f32 v49, vcc_lo, 1.0, v19, 1.0
	v_rcp_f32_e32 v21, v20
	v_fma_f32 v22, -v20, v21, 1.0
	v_fmac_f32_e32 v21, v22, v21
	v_mul_f32_e32 v22, v49, v21
	v_fma_f32 v50, -v20, v22, v49
	v_fmac_f32_e32 v22, v50, v21
	v_mul_f32_e32 v50, 0x80000000, v28
	v_fma_f32 v20, -v20, v22, v49
	v_mul_f32_e32 v49, 0x80000000, v27
	v_fmac_f32_e32 v50, v27, v18
	v_div_fmas_f32 v20, v20, v21, v22
	v_fma_f32 v49, -v28, v18, v49
	v_mul_f32_e32 v21, 0x80000000, v46
	v_mul_f32_e32 v22, 0x80000000, v45
	v_add_co_u32 v16, vcc_lo, s22, v16
	v_div_fixup_f32 v20, v20, v19, 1.0
	v_add_co_ci_u32_e64 v17, null, s23, v17, vcc_lo
	v_fmac_f32_e32 v21, v45, v18
	v_fma_f32 v22, -v46, v18, v22
	v_mul_f32_e32 v52, v49, v20
	v_add_co_u32 v18, vcc_lo, s2, v14
	v_add_co_ci_u32_e64 v19, null, s3, v15, vcc_lo
	v_mul_f32_e32 v55, v50, v20
	v_mul_f32_e64 v14, v52, -v34
	v_mul_f32_e32 v15, v52, v33
	v_mul_f32_e32 v54, v22, v20
	;; [unrolled: 1-line block ×4, first 2 shown]
	v_fmac_f32_e32 v14, v33, v55
	v_fmac_f32_e32 v15, v34, v55
	v_mul_f32_e32 v57, v24, v54
	v_mul_f32_e64 v58, v23, -v54
	v_mul_f32_e32 v50, v26, v54
	v_mul_f32_e64 v56, v52, -v26
	global_store_dwordx2 v[16:17], v[14:15], off
	v_mul_f32_e64 v16, v52, -v24
	v_mul_f32_e32 v14, v23, v52
	v_fmac_f32_e32 v57, v23, v53
	v_mul_f32_e32 v59, v30, v54
	v_mul_f32_e64 v61, v52, -v30
	v_fmac_f32_e32 v16, v23, v55
	global_load_dwordx2 v[22:23], v[9:10], off
	v_mul_f32_e64 v20, v52, -v28
	v_mul_f32_e64 v51, v25, -v54
	v_mul_f32_e32 v49, v25, v52
	v_fmac_f32_e32 v21, v28, v55
	v_mul_f32_e64 v60, v29, -v54
	v_fmac_f32_e32 v50, v25, v53
	v_fmac_f32_e32 v56, v25, v55
	v_mul_f32_e32 v25, v29, v52
	v_fmac_f32_e32 v59, v29, v53
	v_fmac_f32_e32 v61, v29, v55
	global_load_dwordx2 v[28:29], v[18:19], off
	v_fmac_f32_e32 v20, v27, v55
	v_fmac_f32_e32 v51, v26, v53
	v_mul_f32_e64 v27, v33, -v54
	v_fmac_f32_e32 v21, v46, v53
	v_fmac_f32_e32 v49, v26, v55
	;; [unrolled: 1-line block ×3, first 2 shown]
	v_mul_f32_e32 v26, v54, v34
	v_fmac_f32_e32 v27, v34, v53
	v_mov_b32_e32 v15, v8
	s_waitcnt vmcnt(2)
	v_fma_f32 v8, -v47, v55, v50
	v_fma_f32 v34, -v48, v55, v51
	;; [unrolled: 1-line block ×3, first 2 shown]
	v_fmac_f32_e32 v21, v45, v54
	v_fmac_f32_e32 v58, v24, v53
	;; [unrolled: 1-line block ×3, first 2 shown]
	v_mov_b32_e32 v17, v13
	v_fma_f32 v13, -v37, v55, v57
	v_fmac_f32_e32 v16, v37, v53
	v_fma_f32 v33, v48, -v52, v8
	v_fmac_f32_e32 v34, v47, v52
	global_store_dwordx2 v[41:42], v[20:21], off
	global_store_dwordx2 v[2:3], v[33:34], off
	v_fmac_f32_e32 v56, v47, v53
	v_fmac_f32_e32 v49, v48, v53
	v_fma_f32 v46, -v38, v55, v58
	v_fma_f32 v45, v38, -v52, v13
	v_fma_f32 v13, -v38, v54, v16
	v_fmac_f32_e32 v14, v24, v55
	v_fmac_f32_e32 v60, v30, v53
	;; [unrolled: 1-line block ×3, first 2 shown]
	v_fma_f32 v48, -v48, v54, v56
	v_fmac_f32_e32 v49, v47, v54
	v_fmac_f32_e32 v46, v37, v52
	v_fmac_f32_e32 v14, v38, v53
	v_fma_f32 v24, -v35, v55, v59
	v_fma_f32 v51, -v36, v55, v60
	v_fmac_f32_e32 v61, v35, v53
	v_fmac_f32_e32 v25, v36, v53
	global_store_dwordx2 v[43:44], v[48:49], off
	global_store_dwordx2 v[4:5], v[45:46], off
	v_fmac_f32_e32 v14, v37, v54
	v_fma_f32 v50, v36, -v52, v24
	v_fmac_f32_e32 v51, v35, v52
	v_fma_f32 v24, -v36, v54, v61
	v_fmac_f32_e32 v25, v35, v54
	global_store_dwordx2 v[39:40], v[13:14], off
	s_waitcnt vmcnt(1)
	v_mul_f32_e64 v2, v52, -v23
	v_mul_f32_e32 v3, v52, v22
	v_mul_f32_e32 v8, v54, v23
	v_mul_f32_e64 v16, v22, -v54
	v_fmac_f32_e32 v2, v22, v55
	v_fmac_f32_e32 v3, v23, v55
	;; [unrolled: 1-line block ×4, first 2 shown]
	s_waitcnt vmcnt(0)
	v_fmac_f32_e32 v2, v28, v53
	v_fmac_f32_e32 v3, v29, v53
	v_fma_f32 v4, -v28, v55, v8
	v_fma_f32 v5, -v29, v55, v16
	;; [unrolled: 1-line block ×3, first 2 shown]
	v_fmac_f32_e32 v3, v28, v54
	v_fma_f32 v4, v29, -v52, v4
	v_fmac_f32_e32 v5, v28, v52
	global_store_dwordx2 v[6:7], v[50:51], off
	global_store_dwordx2 v[31:32], v[24:25], off
	;; [unrolled: 1-line block ×5, first 2 shown]
	s_cbranch_scc1 .LBB8_16
.LBB8_4:                                ; =>This Inner Loop Header: Depth=1
	v_add_nc_u32_e32 v2, s7, v15
	v_add_nc_u32_e32 v8, s18, v15
                                        ; implicit-def: $vgpr16
	s_mov_b32 s0, exec_lo
	v_ashrrev_i32_e32 v3, 31, v2
	v_ashrrev_i32_e32 v9, 31, v8
	v_lshlrev_b64 v[11:12], 3, v[2:3]
	v_lshlrev_b64 v[9:10], 3, v[8:9]
	s_waitcnt lgkmcnt(0)
	v_add_co_u32 v2, vcc_lo, s4, v11
	v_add_co_ci_u32_e64 v3, null, s5, v12, vcc_lo
	v_add_co_u32 v19, vcc_lo, s8, v9
	v_add_co_ci_u32_e64 v20, null, s9, v10, vcc_lo
	global_load_dwordx2 v[29:30], v[2:3], off
	v_add_co_u32 v21, vcc_lo, s8, v11
	global_load_dwordx2 v[43:44], v[19:20], off
	v_add_co_ci_u32_e64 v22, null, s9, v12, vcc_lo
	v_add_co_u32 v2, vcc_lo, s10, v9
	v_add_co_ci_u32_e64 v3, null, s11, v10, vcc_lo
	v_add_co_u32 v31, vcc_lo, s10, v11
	;; [unrolled: 2-line block ×6, first 2 shown]
	v_add_co_ci_u32_e64 v38, null, s15, v12, vcc_lo
	global_load_dwordx2 v[51:52], v[21:22], off
	s_clause 0x1
	global_load_dwordx2 v[45:46], v[2:3], off
	global_load_dwordx2 v[49:50], v[31:32], off
	s_clause 0x1
	global_load_dwordx2 v[41:42], v[4:5], off
	;; [unrolled: 3-line block ×3, first 2 shown]
	global_load_dwordx2 v[47:48], v[37:38], off
	s_waitcnt vmcnt(8)
	v_mul_f32_e64 v14, v29, -v30
	v_mul_f32_e32 v13, v30, v30
	v_fmac_f32_e32 v14, v30, v29
	v_fmac_f32_e32 v13, v29, v29
	s_waitcnt vmcnt(7)
	v_fmac_f32_e32 v14, v44, v43
	v_fmac_f32_e32 v13, v43, v43
	v_fma_f32 v18, v43, -v44, v14
	v_fmac_f32_e32 v13, v44, v44
	v_cmp_gt_f32_e32 vcc_lo, 0, v18
	v_cndmask_b32_e64 v14, v18, -v18, vcc_lo
	v_cmpx_ngt_f32_e32 v13, v14
	s_xor_b32 s24, exec_lo, s0
	s_cbranch_execz .LBB8_8
; %bb.5:                                ;   in Loop: Header=BB8_4 Depth=1
	v_mov_b32_e32 v16, 0
	s_mov_b32 s25, exec_lo
	v_cmpx_neq_f32_e32 0, v18
	s_cbranch_execz .LBB8_7
; %bb.6:                                ;   in Loop: Header=BB8_4 Depth=1
	v_div_scale_f32 v16, null, v14, v14, v13
	v_div_scale_f32 v24, vcc_lo, v13, v14, v13
	v_rcp_f32_e32 v18, v16
	v_fma_f32 v23, -v16, v18, 1.0
	v_fmac_f32_e32 v18, v23, v18
	v_mul_f32_e32 v23, v24, v18
	v_fma_f32 v25, -v16, v23, v24
	v_fmac_f32_e32 v23, v25, v18
	v_fma_f32 v16, -v16, v23, v24
	v_div_fmas_f32 v16, v16, v18, v23
	v_div_fixup_f32 v13, v16, v14, v13
	v_fma_f32 v13, v13, v13, 1.0
	v_mul_f32_e32 v16, 0x4f800000, v13
	v_cmp_gt_f32_e32 vcc_lo, 0xf800000, v13
	v_cndmask_b32_e32 v13, v13, v16, vcc_lo
	v_sqrt_f32_e32 v16, v13
	v_add_nc_u32_e32 v18, -1, v16
	v_add_nc_u32_e32 v23, 1, v16
	v_fma_f32 v24, -v18, v16, v13
	v_fma_f32 v25, -v23, v16, v13
	v_cmp_ge_f32_e64 s0, 0, v24
	v_cndmask_b32_e64 v16, v16, v18, s0
	v_cmp_lt_f32_e64 s0, 0, v25
	v_cndmask_b32_e64 v16, v16, v23, s0
	v_mul_f32_e32 v18, 0x37800000, v16
	v_cndmask_b32_e32 v16, v16, v18, vcc_lo
	v_cmp_class_f32_e64 vcc_lo, v13, 0x260
	v_cndmask_b32_e32 v13, v16, v13, vcc_lo
	v_mul_f32_e32 v16, v14, v13
.LBB8_7:                                ;   in Loop: Header=BB8_4 Depth=1
	s_or_b32 exec_lo, exec_lo, s25
                                        ; implicit-def: $vgpr13
                                        ; implicit-def: $vgpr14
.LBB8_8:                                ;   in Loop: Header=BB8_4 Depth=1
	s_andn2_saveexec_b32 s24, s24
	s_cbranch_execz .LBB8_10
; %bb.9:                                ;   in Loop: Header=BB8_4 Depth=1
	v_div_scale_f32 v16, null, v13, v13, v14
	v_div_scale_f32 v24, vcc_lo, v14, v13, v14
	v_rcp_f32_e32 v18, v16
	v_fma_f32 v23, -v16, v18, 1.0
	v_fmac_f32_e32 v18, v23, v18
	v_mul_f32_e32 v23, v24, v18
	v_fma_f32 v25, -v16, v23, v24
	v_fmac_f32_e32 v23, v25, v18
	v_fma_f32 v16, -v16, v23, v24
	v_div_fmas_f32 v16, v16, v18, v23
	v_div_fixup_f32 v14, v16, v13, v14
	v_fma_f32 v14, v14, v14, 1.0
	v_mul_f32_e32 v16, 0x4f800000, v14
	v_cmp_gt_f32_e32 vcc_lo, 0xf800000, v14
	v_cndmask_b32_e32 v14, v14, v16, vcc_lo
	v_sqrt_f32_e32 v16, v14
	v_add_nc_u32_e32 v18, -1, v16
	v_add_nc_u32_e32 v23, 1, v16
	v_fma_f32 v24, -v18, v16, v14
	v_fma_f32 v25, -v23, v16, v14
	v_cmp_ge_f32_e64 s0, 0, v24
	v_cndmask_b32_e64 v16, v16, v18, s0
	v_cmp_lt_f32_e64 s0, 0, v25
	v_cndmask_b32_e64 v16, v16, v23, s0
	v_mul_f32_e32 v18, 0x37800000, v16
	v_cndmask_b32_e32 v16, v16, v18, vcc_lo
	v_cmp_class_f32_e64 vcc_lo, v14, 0x260
	v_cndmask_b32_e32 v14, v16, v14, vcc_lo
	v_mul_f32_e32 v16, v13, v14
.LBB8_10:                               ;   in Loop: Header=BB8_4 Depth=1
	s_or_b32 exec_lo, exec_lo, s24
	v_mul_f32_e32 v13, 0x4f800000, v16
	v_cmp_gt_f32_e32 vcc_lo, 0xf800000, v16
	v_mul_f32_e32 v55, 0x80000000, v29
	v_mul_f32_e32 v27, 0x80000000, v43
	;; [unrolled: 1-line block ×4, first 2 shown]
	v_cndmask_b32_e32 v13, v16, v13, vcc_lo
	v_sqrt_f32_e32 v14, v13
	v_add_nc_u32_e32 v16, -1, v14
	v_add_nc_u32_e32 v18, 1, v14
	v_fma_f32 v23, -v16, v14, v13
	v_fma_f32 v24, -v18, v14, v13
	v_cmp_ge_f32_e64 s0, 0, v23
	v_cndmask_b32_e64 v14, v14, v16, s0
	v_cmp_lt_f32_e64 s0, 0, v24
	v_cndmask_b32_e64 v14, v14, v18, s0
	v_add_co_u32 v9, s0, s2, v9
	v_add_co_ci_u32_e64 v10, null, s3, v10, s0
	v_mul_f32_e32 v16, 0x37800000, v14
	s_mov_b32 s0, exec_lo
	v_cndmask_b32_e32 v14, v14, v16, vcc_lo
	v_cmp_class_f32_e64 vcc_lo, v13, 0x260
	v_cndmask_b32_e32 v16, v14, v13, vcc_lo
	v_fma_f32 v18, v16, v16, 0
	v_fmac_f32_e32 v28, v29, v16
	v_fmac_f32_e32 v26, v43, v16
	v_div_scale_f32 v14, null, v18, v18, 1.0
	v_div_scale_f32 v24, vcc_lo, 1.0, v18, 1.0
	v_rcp_f32_e32 v23, v14
	v_fma_f32 v13, -v14, v23, 1.0
	v_fmac_f32_e32 v23, v13, v23
	v_mul_f32_e32 v25, v24, v23
	v_fma_f32 v13, -v14, v25, v24
	v_fmac_f32_e32 v25, v13, v23
	v_add_nc_u32_e32 v13, s17, v17
	v_fma_f32 v24, -v14, v25, v24
	v_ashrrev_i32_e32 v14, 31, v13
	v_div_fmas_f32 v23, v24, v23, v25
	v_fma_f32 v24, -v30, v16, v55
	v_add_co_u32 v53, vcc_lo, s2, v11
	v_add_co_ci_u32_e64 v54, null, s3, v12, vcc_lo
	v_div_fixup_f32 v18, v23, v18, 1.0
	v_lshlrev_b64 v[11:12], 3, v[13:14]
	v_fma_f32 v14, -v44, v16, v27
	global_load_dwordx2 v[55:56], v[9:10], off
	v_mul_f32_e32 v61, v24, v18
	v_mul_f32_e32 v62, v28, v18
	;; [unrolled: 1-line block ×4, first 2 shown]
	v_add_co_u32 v11, vcc_lo, s20, v11
	v_mul_f32_e64 v14, v61, -v30
	v_mul_f32_e32 v28, v61, v29
	s_waitcnt vmcnt(5)
	v_mul_f32_e64 v23, v61, -v50
	v_mul_f32_e32 v24, v61, v49
	v_mul_f32_e64 v57, v49, -v60
	v_fmac_f32_e32 v14, v29, v62
	v_fmac_f32_e32 v28, v30, v62
	v_mul_f32_e32 v29, v60, v50
	s_waitcnt vmcnt(3)
	v_mul_f32_e64 v63, v61, -v34
	v_mul_f32_e32 v30, v61, v33
	v_mul_f32_e32 v58, v60, v34
	v_mul_f32_e64 v64, v33, -v60
	v_fmac_f32_e32 v23, v49, v62
	v_fmac_f32_e32 v24, v50, v62
	;; [unrolled: 1-line block ×8, first 2 shown]
	s_waitcnt vmcnt(1)
	v_mul_f32_e32 v49, v60, v48
	v_mul_f32_e64 v50, v47, -v60
	v_mul_f32_e64 v33, v61, -v48
	v_mul_f32_e32 v34, v61, v47
	v_mul_f32_e64 v16, v61, -v52
	v_fmac_f32_e32 v49, v47, v59
	v_fmac_f32_e32 v50, v48, v59
	v_fmac_f32_e32 v33, v47, v62
	v_fmac_f32_e32 v34, v48, v62
	global_load_dwordx2 v[47:48], v[53:54], off
	v_mul_f32_e32 v18, v60, v52
	v_mul_f32_e64 v25, v51, -v60
	v_fmac_f32_e32 v16, v51, v62
	v_mul_f32_e32 v26, v61, v51
	v_fmac_f32_e32 v14, v43, v59
	v_fmac_f32_e32 v18, v51, v59
	;; [unrolled: 1-line block ×5, first 2 shown]
	v_fma_f32 v27, -v44, v60, v14
	v_fma_f32 v14, -v45, v62, v18
	;; [unrolled: 1-line block ×4, first 2 shown]
	v_ashrrev_i32_e32 v16, 31, v15
	v_ashrrev_i32_e32 v18, 31, v17
	v_fma_f32 v51, v46, -v61, v14
	v_fmac_f32_e32 v26, v46, v59
	v_fmac_f32_e32 v24, v42, v59
	v_lshlrev_b64 v[14:15], 3, v[15:16]
	v_fma_f32 v46, -v42, v62, v57
	v_fmac_f32_e32 v23, v41, v59
	v_lshlrev_b64 v[16:17], 3, v[17:18]
	v_fma_f32 v18, -v41, v62, v29
	v_add_co_ci_u32_e64 v12, null, s21, v12, vcc_lo
	v_fmac_f32_e32 v24, v41, v60
	v_fmac_f32_e32 v46, v41, v61
	v_add_co_u32 v41, vcc_lo, s10, v14
	v_fmac_f32_e32 v26, v45, v60
	v_fmac_f32_e32 v52, v45, v61
	v_fma_f32 v23, -v42, v60, v23
	v_fma_f32 v45, v42, -v61, v18
	v_add_co_ci_u32_e64 v42, null, s11, v15, vcc_lo
	v_fmac_f32_e32 v28, v44, v59
	global_store_dwordx2 v[2:3], v[25:26], off
	global_store_dwordx2 v[31:32], v[45:46], off
	v_fmac_f32_e32 v30, v40, v59
	global_load_dwordx2 v[45:46], v[41:42], off
	v_fmac_f32_e32 v63, v39, v59
	v_fmac_f32_e32 v28, v43, v60
	v_fma_f32 v43, -v39, v62, v58
	v_fma_f32 v58, -v40, v62, v64
	v_fmac_f32_e32 v30, v39, v60
	v_fma_f32 v29, -v40, v60, v63
	v_fma_f32 v57, v40, -v61, v43
	v_add_co_u32 v43, vcc_lo, s12, v14
	v_add_co_ci_u32_e64 v44, null, s13, v15, vcc_lo
	v_fmac_f32_e32 v58, v39, v61
	v_add_co_u32 v39, vcc_lo, s14, v14
	v_add_co_ci_u32_e64 v40, null, s15, v15, vcc_lo
	v_add_co_u32 v31, vcc_lo, s20, v16
	v_add_co_ci_u32_e64 v32, null, s21, v17, vcc_lo
	global_store_dwordx2 v[11:12], v[33:34], off
	global_store_dwordx2 v[4:5], v[23:24], off
	;; [unrolled: 1-line block ×5, first 2 shown]
	global_load_dwordx2 v[37:38], v[39:40], off
	v_mul_f32_e64 v50, v27, -v28
	global_load_dwordx2 v[35:36], v[31:32], off
	v_fmac_f32_e32 v50, v28, v27
	s_waitcnt vmcnt(3)
	v_mul_f32_e64 v18, v61, -v48
	v_mul_f32_e32 v58, v61, v47
	v_mul_f32_e32 v49, v60, v48
	v_mul_f32_e64 v63, -v60, v47
	v_fmac_f32_e32 v18, v47, v62
	v_fmac_f32_e32 v58, v48, v62
	;; [unrolled: 1-line block ×4, first 2 shown]
	global_load_dwordx2 v[47:48], v[43:44], off
	v_fmac_f32_e32 v18, v55, v59
	v_fmac_f32_e32 v58, v56, v59
	v_fma_f32 v49, -v55, v62, v49
	v_fma_f32 v57, -v56, v60, v18
	v_mul_f32_e32 v18, v28, v28
	v_fmac_f32_e32 v58, v55, v60
	v_fma_f32 v60, -v56, v62, v63
	v_fma_f32 v59, v56, -v61, v49
	v_fmac_f32_e32 v18, v27, v27
	v_fmac_f32_e32 v60, v55, v61
	global_store_dwordx2 v[19:20], v[27:28], off
	global_store_dwordx2 v[21:22], v[51:52], off
	global_store_dwordx2 v[9:10], v[57:58], off
	global_store_dwordx2 v[53:54], v[59:60], off
                                        ; implicit-def: $vgpr19
	s_waitcnt vmcnt(3)
	v_fmac_f32_e32 v50, v46, v45
	v_fmac_f32_e32 v18, v45, v45
	v_fma_f32 v50, v45, -v46, v50
	v_fmac_f32_e32 v18, v46, v46
	v_cmp_gt_f32_e32 vcc_lo, 0, v50
	v_cndmask_b32_e64 v49, v50, -v50, vcc_lo
	v_cmpx_ngt_f32_e32 v18, v49
	s_xor_b32 s24, exec_lo, s0
	s_cbranch_execz .LBB8_14
; %bb.11:                               ;   in Loop: Header=BB8_4 Depth=1
	v_mov_b32_e32 v19, 0
	s_mov_b32 s25, exec_lo
	v_cmpx_neq_f32_e32 0, v50
	s_cbranch_execz .LBB8_13
; %bb.12:                               ;   in Loop: Header=BB8_4 Depth=1
	v_div_scale_f32 v19, null, v49, v49, v18
	v_div_scale_f32 v22, vcc_lo, v18, v49, v18
	v_rcp_f32_e32 v20, v19
	v_fma_f32 v21, -v19, v20, 1.0
	v_fmac_f32_e32 v20, v21, v20
	v_mul_f32_e32 v21, v22, v20
	v_fma_f32 v50, -v19, v21, v22
	v_fmac_f32_e32 v21, v50, v20
	v_fma_f32 v19, -v19, v21, v22
	v_div_fmas_f32 v19, v19, v20, v21
	v_div_fixup_f32 v18, v19, v49, v18
	v_fma_f32 v18, v18, v18, 1.0
	v_mul_f32_e32 v19, 0x4f800000, v18
	v_cmp_gt_f32_e32 vcc_lo, 0xf800000, v18
	v_cndmask_b32_e32 v18, v18, v19, vcc_lo
	v_sqrt_f32_e32 v19, v18
	v_add_nc_u32_e32 v20, -1, v19
	v_add_nc_u32_e32 v21, 1, v19
	v_fma_f32 v22, -v20, v19, v18
	v_fma_f32 v50, -v21, v19, v18
	v_cmp_ge_f32_e64 s0, 0, v22
	v_cndmask_b32_e64 v19, v19, v20, s0
	v_cmp_lt_f32_e64 s0, 0, v50
	v_cndmask_b32_e64 v19, v19, v21, s0
	v_mul_f32_e32 v20, 0x37800000, v19
	v_cndmask_b32_e32 v19, v19, v20, vcc_lo
	v_cmp_class_f32_e64 vcc_lo, v18, 0x260
	v_cndmask_b32_e32 v18, v19, v18, vcc_lo
	v_mul_f32_e32 v19, v49, v18
.LBB8_13:                               ;   in Loop: Header=BB8_4 Depth=1
	s_or_b32 exec_lo, exec_lo, s25
                                        ; implicit-def: $vgpr18
                                        ; implicit-def: $vgpr49
.LBB8_14:                               ;   in Loop: Header=BB8_4 Depth=1
	s_andn2_saveexec_b32 s24, s24
	s_cbranch_execz .LBB8_3
; %bb.15:                               ;   in Loop: Header=BB8_4 Depth=1
	v_div_scale_f32 v19, null, v18, v18, v49
	v_div_scale_f32 v22, vcc_lo, v49, v18, v49
	v_rcp_f32_e32 v20, v19
	v_fma_f32 v21, -v19, v20, 1.0
	v_fmac_f32_e32 v20, v21, v20
	v_mul_f32_e32 v21, v22, v20
	v_fma_f32 v50, -v19, v21, v22
	v_fmac_f32_e32 v21, v50, v20
	v_fma_f32 v19, -v19, v21, v22
	v_div_fmas_f32 v19, v19, v20, v21
	v_div_fixup_f32 v19, v19, v18, v49
	v_fma_f32 v19, v19, v19, 1.0
	v_mul_f32_e32 v20, 0x4f800000, v19
	v_cmp_gt_f32_e32 vcc_lo, 0xf800000, v19
	v_cndmask_b32_e32 v19, v19, v20, vcc_lo
	v_sqrt_f32_e32 v20, v19
	v_add_nc_u32_e32 v21, -1, v20
	v_add_nc_u32_e32 v22, 1, v20
	v_fma_f32 v49, -v21, v20, v19
	v_fma_f32 v50, -v22, v20, v19
	v_cmp_ge_f32_e64 s0, 0, v49
	v_cndmask_b32_e64 v20, v20, v21, s0
	v_cmp_lt_f32_e64 s0, 0, v50
	v_cndmask_b32_e64 v20, v20, v22, s0
	v_mul_f32_e32 v21, 0x37800000, v20
	v_cndmask_b32_e32 v20, v20, v21, vcc_lo
	v_cmp_class_f32_e64 vcc_lo, v19, 0x260
	v_cndmask_b32_e32 v19, v20, v19, vcc_lo
	v_mul_f32_e32 v19, v18, v19
	s_branch .LBB8_3
.LBB8_16:
	s_add_i32 s0, s16, -1
	s_mul_i32 s4, s18, s0
	s_mov_b32 s0, exec_lo
	v_add_nc_u32_e32 v2, s4, v1
	s_sub_i32 s5, s4, s18
	v_add_nc_u32_e32 v4, s5, v1
	v_ashrrev_i32_e32 v3, 31, v2
	v_ashrrev_i32_e32 v5, 31, v4
	v_lshlrev_b64 v[42:43], 3, v[2:3]
	v_lshlrev_b64 v[40:41], 3, v[4:5]
	s_waitcnt lgkmcnt(0)
	v_add_co_u32 v2, vcc_lo, s8, v42
	v_add_co_ci_u32_e64 v3, null, s9, v43, vcc_lo
	v_add_co_u32 v24, vcc_lo, s10, v40
	v_add_co_ci_u32_e64 v25, null, s11, v41, vcc_lo
	v_add_co_u32 v32, vcc_lo, s10, v42
	v_add_co_ci_u32_e64 v33, null, s11, v43, vcc_lo
	v_mad_u64_u32 v[4:5], null, s17, s6, v[1:2]
	global_load_dwordx2 v[38:39], v[2:3], off
	s_clause 0x1
	global_load_dwordx2 v[36:37], v[24:25], off
	global_load_dwordx2 v[30:31], v[32:33], off
	v_add_co_u32 v26, vcc_lo, s12, v40
	v_add_co_ci_u32_e64 v27, null, s13, v41, vcc_lo
	v_add_co_u32 v28, vcc_lo, s12, v42
	v_add_nc_u32_e32 v14, s17, v4
	v_ashrrev_i32_e32 v5, 31, v4
	v_add_co_ci_u32_e64 v29, null, s13, v43, vcc_lo
	v_add_co_u32 v16, vcc_lo, s14, v40
	v_ashrrev_i32_e32 v15, 31, v14
	v_lshlrev_b64 v[2:3], 3, v[4:5]
	v_add_co_ci_u32_e64 v17, null, s15, v41, vcc_lo
	v_add_co_u32 v18, vcc_lo, s14, v42
	v_lshlrev_b64 v[4:5], 3, v[14:15]
	v_add_co_ci_u32_e64 v19, null, s15, v43, vcc_lo
	v_add_co_u32 v8, vcc_lo, s20, v2
	v_add_co_ci_u32_e64 v9, null, s21, v3, vcc_lo
	v_add_co_u32 v6, vcc_lo, s20, v4
	v_add_co_ci_u32_e64 v7, null, s21, v5, vcc_lo
	s_clause 0x1
	global_load_dwordx2 v[34:35], v[26:27], off
	global_load_dwordx2 v[22:23], v[28:29], off
	s_clause 0x1
	global_load_dwordx2 v[20:21], v[16:17], off
	global_load_dwordx2 v[12:13], v[18:19], off
	;; [unrolled: 3-line block ×3, first 2 shown]
	s_waitcnt vmcnt(8)
	v_mul_f32_e64 v15, v38, -v39
	v_mul_f32_e32 v44, v39, v39
	v_fmac_f32_e32 v15, v39, v38
	v_fmac_f32_e32 v44, v38, v38
	s_waitcnt vmcnt(7)
	v_fmac_f32_e32 v15, v37, v36
	v_fmac_f32_e32 v44, v36, v36
	v_fma_f32 v46, v36, -v37, v15
	v_fmac_f32_e32 v44, v37, v37
                                        ; implicit-def: $vgpr15
	v_cmp_gt_f32_e32 vcc_lo, 0, v46
	v_cndmask_b32_e64 v45, v46, -v46, vcc_lo
	v_cmpx_ngt_f32_e32 v44, v45
	s_xor_b32 s7, exec_lo, s0
	s_cbranch_execz .LBB8_20
; %bb.17:
	v_mov_b32_e32 v15, 0
	s_mov_b32 s8, exec_lo
	v_cmpx_neq_f32_e32 0, v46
	s_cbranch_execz .LBB8_19
; %bb.18:
	v_div_scale_f32 v15, null, v45, v45, v44
	v_div_scale_f32 v48, vcc_lo, v44, v45, v44
	v_rcp_f32_e32 v46, v15
	v_fma_f32 v47, -v15, v46, 1.0
	v_fmac_f32_e32 v46, v47, v46
	v_mul_f32_e32 v47, v48, v46
	v_fma_f32 v49, -v15, v47, v48
	v_fmac_f32_e32 v47, v49, v46
	v_fma_f32 v15, -v15, v47, v48
	v_div_fmas_f32 v15, v15, v46, v47
	v_div_fixup_f32 v15, v15, v45, v44
	v_fma_f32 v15, v15, v15, 1.0
	v_mul_f32_e32 v44, 0x4f800000, v15
	v_cmp_gt_f32_e32 vcc_lo, 0xf800000, v15
	v_cndmask_b32_e32 v15, v15, v44, vcc_lo
	v_sqrt_f32_e32 v44, v15
	v_add_nc_u32_e32 v46, -1, v44
	v_add_nc_u32_e32 v47, 1, v44
	v_fma_f32 v48, -v46, v44, v15
	v_fma_f32 v49, -v47, v44, v15
	v_cmp_ge_f32_e64 s0, 0, v48
	v_cndmask_b32_e64 v44, v44, v46, s0
	v_cmp_lt_f32_e64 s0, 0, v49
	v_cndmask_b32_e64 v44, v44, v47, s0
	v_mul_f32_e32 v46, 0x37800000, v44
	v_cndmask_b32_e32 v44, v44, v46, vcc_lo
	v_cmp_class_f32_e64 vcc_lo, v15, 0x260
	v_cndmask_b32_e32 v15, v44, v15, vcc_lo
	v_mul_f32_e32 v15, v45, v15
.LBB8_19:
	s_or_b32 exec_lo, exec_lo, s8
                                        ; implicit-def: $vgpr44
                                        ; implicit-def: $vgpr45
.LBB8_20:
	s_andn2_saveexec_b32 s7, s7
	s_cbranch_execz .LBB8_22
; %bb.21:
	v_div_scale_f32 v15, null, v44, v44, v45
	v_div_scale_f32 v48, vcc_lo, v45, v44, v45
	v_rcp_f32_e32 v46, v15
	v_fma_f32 v47, -v15, v46, 1.0
	v_fmac_f32_e32 v46, v47, v46
	v_mul_f32_e32 v47, v48, v46
	v_fma_f32 v49, -v15, v47, v48
	v_fmac_f32_e32 v47, v49, v46
	v_fma_f32 v15, -v15, v47, v48
	v_div_fmas_f32 v15, v15, v46, v47
	v_div_fixup_f32 v15, v15, v44, v45
	v_fma_f32 v15, v15, v15, 1.0
	v_mul_f32_e32 v45, 0x4f800000, v15
	v_cmp_gt_f32_e32 vcc_lo, 0xf800000, v15
	v_cndmask_b32_e32 v15, v15, v45, vcc_lo
	v_sqrt_f32_e32 v45, v15
	v_add_nc_u32_e32 v46, -1, v45
	v_add_nc_u32_e32 v47, 1, v45
	v_fma_f32 v48, -v46, v45, v15
	v_fma_f32 v49, -v47, v45, v15
	v_cmp_ge_f32_e64 s0, 0, v48
	v_cndmask_b32_e64 v45, v45, v46, s0
	v_cmp_lt_f32_e64 s0, 0, v49
	v_cndmask_b32_e64 v45, v45, v47, s0
	v_mul_f32_e32 v46, 0x37800000, v45
	v_cndmask_b32_e32 v45, v45, v46, vcc_lo
	v_cmp_class_f32_e64 vcc_lo, v15, 0x260
	v_cndmask_b32_e32 v15, v45, v15, vcc_lo
	v_mul_f32_e32 v15, v44, v15
.LBB8_22:
	s_or_b32 exec_lo, exec_lo, s7
	v_add_co_u32 v42, vcc_lo, s2, v42
	v_add_co_ci_u32_e64 v43, null, s3, v43, vcc_lo
	v_add_co_u32 v40, vcc_lo, s2, v40
	v_add_co_ci_u32_e64 v41, null, s3, v41, vcc_lo
	global_load_dwordx2 v[44:45], v[42:43], off
	v_mul_f32_e32 v48, 0x4f800000, v15
	v_cmp_gt_f32_e32 vcc_lo, 0xf800000, v15
	global_load_dwordx2 v[46:47], v[40:41], off
	v_cndmask_b32_e32 v15, v15, v48, vcc_lo
	v_sqrt_f32_e32 v48, v15
	v_add_nc_u32_e32 v49, -1, v48
	v_add_nc_u32_e32 v50, 1, v48
	v_fma_f32 v51, -v49, v48, v15
	v_fma_f32 v52, -v50, v48, v15
	v_cmp_ge_f32_e64 s0, 0, v51
	v_cndmask_b32_e64 v48, v48, v49, s0
	v_cmp_lt_f32_e64 s0, 0, v52
	v_cndmask_b32_e64 v48, v48, v50, s0
	s_sub_i32 s0, s5, s18
	v_mul_f32_e32 v49, 0x37800000, v48
	v_cndmask_b32_e32 v48, v48, v49, vcc_lo
	v_cmp_class_f32_e64 vcc_lo, v15, 0x260
	v_cndmask_b32_e32 v15, v48, v15, vcc_lo
	v_fma_f32 v48, v15, v15, 0
	v_div_scale_f32 v49, null, v48, v48, 1.0
	v_div_scale_f32 v52, vcc_lo, 1.0, v48, 1.0
	v_rcp_f32_e32 v50, v49
	v_fma_f32 v51, -v49, v50, 1.0
	v_fmac_f32_e32 v50, v51, v50
	v_mul_f32_e32 v51, v52, v50
	v_fma_f32 v53, -v49, v51, v52
	v_fmac_f32_e32 v51, v53, v50
	v_mul_f32_e32 v53, 0x80000000, v39
	v_fma_f32 v49, -v49, v51, v52
	v_mul_f32_e32 v52, 0x80000000, v38
	v_fmac_f32_e32 v53, v38, v15
	v_div_fmas_f32 v49, v49, v50, v51
	v_mul_f32_e32 v51, 0x80000000, v36
	v_fma_f32 v52, -v39, v15, v52
	v_mul_f32_e32 v50, 0x80000000, v37
	v_div_fixup_f32 v48, v49, v48, 1.0
	v_fma_f32 v49, -v37, v15, v51
	v_fmac_f32_e32 v50, v36, v15
	v_mul_f32_e32 v51, v52, v48
	v_mul_f32_e32 v52, v49, v48
	;; [unrolled: 1-line block ×4, first 2 shown]
	s_waitcnt vmcnt(1)
	v_mul_f32_e64 v15, v51, -v45
	v_mul_f32_e32 v49, v51, v44
	v_mul_f32_e32 v48, v52, v45
	v_mul_f32_e64 v54, -v52, v44
	v_fmac_f32_e32 v15, v44, v53
	v_fmac_f32_e32 v49, v45, v53
	;; [unrolled: 1-line block ×4, first 2 shown]
	s_waitcnt vmcnt(0)
	v_fmac_f32_e32 v15, v46, v50
	v_fmac_f32_e32 v49, v47, v50
	v_fma_f32 v44, -v46, v53, v48
	v_fma_f32 v45, -v47, v53, v54
	v_mul_f32_e64 v54, v12, -v52
	v_fma_f32 v48, -v47, v52, v15
	v_fmac_f32_e32 v49, v46, v52
	v_fma_f32 v44, v47, -v51, v44
	v_fmac_f32_e32 v45, v46, v51
	global_store_dwordx2 v[40:41], v[48:49], off
	global_store_dwordx2 v[42:43], v[44:45], off
	global_load_dwordx2 v[44:45], v[42:43], off
	v_mul_f32_e64 v15, v30, -v52
	v_mul_f32_e32 v46, v52, v31
	v_mul_f32_e64 v48, v51, -v39
	v_mul_f32_e32 v49, v51, v38
	v_fmac_f32_e32 v54, v13, v50
	v_fmac_f32_e32 v15, v31, v50
	;; [unrolled: 1-line block ×5, first 2 shown]
	v_mul_f32_e64 v39, v51, -v31
	v_fma_f32 v47, -v35, v53, v15
	v_fma_f32 v15, -v34, v53, v46
	v_fmac_f32_e32 v48, v36, v50
	v_fmac_f32_e32 v49, v37, v50
	v_fmac_f32_e32 v39, v30, v53
	v_fmac_f32_e32 v47, v34, v51
	v_fma_f32 v46, v35, -v51, v15
	v_fma_f32 v48, -v37, v52, v48
	v_fmac_f32_e32 v49, v36, v52
	global_store_dwordx2 v[24:25], v[48:49], off
	global_store_dwordx2 v[32:33], v[46:47], off
	v_mul_f32_e32 v15, v47, v47
	global_load_dwordx2 v[24:25], v[24:25], off
	v_mul_f32_e32 v36, v52, v23
	v_mul_f32_e64 v49, v22, -v52
	v_fmac_f32_e32 v39, v34, v50
	v_fmac_f32_e32 v15, v46, v46
	;; [unrolled: 1-line block ×4, first 2 shown]
	v_div_scale_f32 v38, null, v15, v15, 1.0
	v_div_scale_f32 v33, vcc_lo, 1.0, v15, 1.0
	v_rcp_f32_e32 v37, v38
	v_fma_f32 v32, -v38, v37, 1.0
	v_fmac_f32_e32 v37, v32, v37
	v_mul_f32_e32 v32, v51, v30
	v_mul_f32_e32 v48, v33, v37
	v_fmac_f32_e32 v32, v31, v53
	v_fma_f32 v31, -v35, v52, v39
	v_fma_f32 v30, -v38, v48, v33
	v_fmac_f32_e32 v32, v35, v50
	v_fmac_f32_e32 v48, v30, v37
	v_fma_f32 v30, -v20, v53, v36
	v_fma_f32 v36, -v21, v53, v49
	v_fmac_f32_e32 v32, v34, v52
	v_mul_f32_e32 v49, v52, v13
	v_fma_f32 v33, -v38, v48, v33
	v_fma_f32 v35, v21, -v51, v30
	v_fmac_f32_e32 v36, v20, v51
	global_store_dwordx2 v[26:27], v[31:32], off
	global_store_dwordx2 v[28:29], v[35:36], off
	v_div_fmas_f32 v30, v33, v37, v48
	global_load_dwordx2 v[26:27], v[26:27], off
	v_add_nc_u32_e32 v32, s0, v1
	v_mul_f32_e64 v48, v51, -v23
	v_fmac_f32_e32 v49, v12, v50
	v_div_fixup_f32 v15, v30, v15, 1.0
	s_sub_i32 s0, s0, s18
	s_cmp_lt_i32 s16, 5
	v_fmac_f32_e32 v48, v22, v53
	v_fmac_f32_e32 v48, v20, v50
	s_waitcnt vmcnt(2)
	v_mul_f32_e32 v33, v47, v45
	v_mul_f32_e64 v34, v47, -v44
	v_fmac_f32_e32 v33, v44, v46
	v_fmac_f32_e32 v34, v45, v46
	v_mul_f32_e32 v28, v15, v33
	v_mul_f32_e32 v29, v34, v15
	v_ashrrev_i32_e32 v33, 31, v32
	global_store_dwordx2 v[42:43], v[28:29], off
	global_load_dwordx2 v[30:31], v[40:41], off
	v_lshlrev_b64 v[32:33], 3, v[32:33]
	v_add_co_u32 v34, vcc_lo, s10, v32
	s_waitcnt vmcnt(2)
	v_mul_f32_e32 v15, v25, v25
	v_add_co_ci_u32_e64 v35, null, s11, v33, vcc_lo
	v_add_co_u32 v36, vcc_lo, s12, v32
	v_fmac_f32_e32 v15, v24, v24
	v_add_co_ci_u32_e64 v37, null, s13, v33, vcc_lo
	v_add_co_u32 v38, vcc_lo, s14, v32
	v_div_scale_f32 v44, null, v15, v15, 1.0
	v_add_co_ci_u32_e64 v39, null, s15, v33, vcc_lo
	v_div_scale_f32 v47, vcc_lo, 1.0, v15, 1.0
	v_rcp_f32_e32 v46, v44
	global_load_dwordx2 v[34:35], v[34:35], off
	v_fma_f32 v45, -v44, v46, 1.0
	v_fmac_f32_e32 v46, v45, v46
	v_mul_f32_e32 v45, v51, v22
	v_mul_f32_e32 v55, v47, v46
	v_fmac_f32_e32 v45, v23, v53
	v_fma_f32 v22, -v44, v55, v47
	v_fmac_f32_e32 v45, v21, v50
	v_fmac_f32_e32 v55, v22, v46
	v_fma_f32 v22, -v11, v53, v54
	v_fmac_f32_e32 v45, v20, v52
	v_fmac_f32_e32 v22, v10, v51
	s_waitcnt vmcnt(2)
	v_mul_f32_e32 v23, v29, v26
	v_mul_f32_e64 v29, v29, -v27
	v_fmac_f32_e32 v23, v27, v28
	v_fmac_f32_e32 v29, v26, v28
	v_fma_f32 v27, -v44, v55, v47
	v_fma_f32 v26, -v10, v53, v49
	;; [unrolled: 1-line block ×3, first 2 shown]
	v_mul_f32_e64 v48, v51, -v13
	v_div_fmas_f32 v27, v27, v46, v55
	v_fma_f32 v21, v11, -v51, v26
	v_fmac_f32_e32 v48, v12, v53
	v_div_fixup_f32 v15, v27, v15, 1.0
	v_add_co_u32 v27, vcc_lo, s2, v32
	v_fmac_f32_e32 v48, v10, v50
	s_waitcnt vmcnt(1)
	v_sub_f32_e32 v23, v31, v23
	v_sub_f32_e32 v28, v30, v29
	v_mul_f32_e32 v29, v25, v23
	v_mul_f32_e64 v30, v25, -v28
	v_fmac_f32_e32 v29, v28, v24
	v_fmac_f32_e32 v30, v23, v24
	global_load_dwordx2 v[23:24], v[36:37], off
	global_store_dwordx2 v[16:17], v[44:45], off
	global_store_dwordx2 v[18:19], v[21:22], off
	v_add_co_ci_u32_e64 v28, null, s3, v33, vcc_lo
	v_mul_f32_e32 v25, v15, v29
	v_mul_f32_e32 v26, v15, v30
	global_load_dwordx2 v[15:16], v[38:39], off
	v_add_nc_u32_e32 v29, s0, v1
	v_mul_f32_e32 v44, v52, v5
	v_mul_f32_e64 v45, v4, -v52
	global_store_dwordx2 v[40:41], v[25:26], off
	s_clause 0x1
	global_load_dwordx2 v[17:18], v[42:43], off
	global_load_dwordx2 v[19:20], v[27:28], off
	v_ashrrev_i32_e32 v30, 31, v29
	v_fmac_f32_e32 v44, v4, v50
	s_waitcnt vmcnt(4)
	v_mul_f32_e32 v33, v35, v35
	v_fmac_f32_e32 v45, v5, v50
	v_lshlrev_b64 v[29:30], 3, v[29:30]
	v_fmac_f32_e32 v33, v34, v34
	v_div_scale_f32 v1, null, v33, v33, 1.0
	v_rcp_f32_e32 v46, v1
	s_waitcnt vmcnt(3)
	v_mul_f32_e64 v54, v26, -v24
	v_mul_f32_e32 v26, v26, v23
	v_fmac_f32_e32 v54, v23, v25
	s_waitcnt vmcnt(2)
	v_mad_u64_u32 v[21:22], null, s17, -3, v[14:15]
	v_fma_f32 v14, -v1, v46, 1.0
	v_fmac_f32_e32 v26, v24, v25
	s_waitcnt vmcnt(1)
	v_mul_f32_e32 v23, v18, v15
	v_mul_f32_e64 v18, v18, -v16
	s_waitcnt vmcnt(0)
	v_sub_f32_e32 v19, v19, v54
	v_fmac_f32_e32 v46, v14, v46
	v_ashrrev_i32_e32 v22, 31, v21
	v_mul_f32_e32 v14, v51, v12
	v_sub_f32_e32 v20, v20, v26
	v_fmac_f32_e32 v23, v16, v17
	v_fmac_f32_e32 v18, v15, v17
	v_lshlrev_b64 v[21:22], 3, v[21:22]
	v_fmac_f32_e32 v14, v13, v53
	v_sub_f32_e32 v12, v20, v23
	v_sub_f32_e32 v13, v19, v18
	v_add_co_u32 v21, vcc_lo, s20, v21
	v_add_co_ci_u32_e64 v22, null, s21, v22, vcc_lo
	v_add_co_u32 v31, vcc_lo, s2, v29
	v_add_co_ci_u32_e64 v32, null, s3, v30, vcc_lo
	;; [unrolled: 2-line block ×4, first 2 shown]
	v_div_scale_f32 v47, vcc_lo, 1.0, v33, 1.0
	v_mul_f32_e32 v17, v35, v12
	global_load_dwordx2 v[38:39], v[38:39], off
	v_mul_f32_e64 v18, v35, -v13
	v_mul_f32_e32 v49, v47, v46
	v_fmac_f32_e32 v14, v11, v50
	v_fmac_f32_e32 v17, v13, v34
	v_add_co_u32 v29, s0, s14, v29
	v_fma_f32 v55, -v1, v49, v47
	v_fmac_f32_e32 v18, v12, v34
	v_fma_f32 v13, -v11, v52, v48
	v_fmac_f32_e32 v14, v10, v52
	v_add_co_ci_u32_e64 v30, null, s15, v30, s0
	v_fmac_f32_e32 v49, v55, v46
	global_load_dwordx2 v[15:16], v[36:37], off
	global_store_dwordx2 v[8:9], v[13:14], off
	global_load_dwordx2 v[8:9], v[29:30], off
	v_fma_f32 v1, -v1, v49, v47
	v_div_fmas_f32 v1, v1, v46, v49
	v_div_fixup_f32 v1, v1, v33, 1.0
	v_mul_f32_e32 v10, v1, v17
	v_mul_f32_e32 v11, v1, v18
	global_store_dwordx2 v[27:28], v[10:11], off
	s_clause 0x1
	global_load_dwordx2 v[12:13], v[31:32], off
	global_load_dwordx2 v[17:18], v[40:41], off
	global_store_dwordx2 v[6:7], v[44:45], off
	global_load_dwordx2 v[6:7], v[21:22], off
	global_load_dwordx2 v[19:20], v[42:43], off
	s_waitcnt vmcnt(6)
	v_mul_f32_e32 v1, v39, v39
	v_fmac_f32_e32 v1, v38, v38
	v_div_scale_f32 v14, null, v1, v1, 1.0
	v_div_scale_f32 v23, vcc_lo, 1.0, v1, 1.0
	v_rcp_f32_e32 v21, v14
	v_fma_f32 v22, -v14, v21, 1.0
	v_fmac_f32_e32 v21, v22, v21
	s_waitcnt vmcnt(5)
	v_mul_f32_e64 v22, v11, -v16
	v_mul_f32_e32 v11, v11, v15
	v_mul_f32_e32 v24, v23, v21
	v_fmac_f32_e32 v22, v15, v10
	v_fmac_f32_e32 v11, v16, v10
	s_waitcnt vmcnt(2)
	v_mul_f32_e32 v15, v18, v8
	v_mul_f32_e64 v16, v18, -v9
	v_fma_f32 v10, -v14, v24, v23
	v_sub_f32_e32 v12, v12, v22
	v_sub_f32_e32 v11, v13, v11
	s_waitcnt vmcnt(0)
	v_mul_f32_e64 v13, v20, -v7
	v_mul_f32_e32 v18, v20, v6
	v_fmac_f32_e32 v15, v9, v17
	v_fmac_f32_e32 v16, v8, v17
	;; [unrolled: 1-line block ×5, first 2 shown]
	v_sub_f32_e32 v6, v11, v15
	v_sub_f32_e32 v7, v12, v16
	v_fma_f32 v8, -v14, v24, v23
	v_sub_f32_e32 v9, v6, v18
	v_sub_f32_e32 v10, v7, v13
	v_div_fmas_f32 v8, v8, v21, v24
	v_mul_f32_e64 v6, v51, -v5
	v_mul_f32_e32 v7, v51, v4
	v_mul_f32_e32 v11, v39, v9
	v_mul_f32_e64 v12, v39, -v10
	v_div_fixup_f32 v8, v8, v1, 1.0
	v_add_co_u32 v1, vcc_lo, s22, v2
	v_fmac_f32_e32 v11, v10, v38
	v_fmac_f32_e32 v12, v9, v38
	v_add_co_ci_u32_e64 v2, null, s23, v3, vcc_lo
	v_fmac_f32_e32 v6, v4, v53
	v_fmac_f32_e32 v7, v5, v53
	v_mul_f32_e32 v3, v8, v11
	v_mul_f32_e32 v4, v8, v12
	global_store_dwordx2 v[1:2], v[6:7], off
	global_store_dwordx2 v[31:32], v[3:4], off
	s_cbranch_scc1 .LBB8_25
; %bb.23:
	s_add_i32 s5, s16, -5
	s_add_i32 s0, s16, -4
	v_mad_u64_u32 v[1:2], null, s17, s5, v[0:1]
	s_add_i32 s7, s16, -3
	v_mad_u64_u32 v[2:3], null, s18, s0, v[0:1]
	v_mad_u64_u32 v[3:4], null, s18, s7, v[0:1]
	;; [unrolled: 1-line block ×4, first 2 shown]
	v_add_nc_u32_e32 v0, s4, v0
.LBB8_24:                               ; =>This Inner Loop Header: Depth=1
	v_add_nc_u32_e32 v6, s1, v5
	v_add_nc_u32_e32 v8, s1, v2
	v_add_nc_u32_e32 v10, s1, v3
	v_add_nc_u32_e32 v12, s1, v1
	v_add_nc_u32_e32 v14, s1, v4
	v_ashrrev_i32_e32 v7, 31, v6
	v_ashrrev_i32_e32 v9, 31, v8
	v_ashrrev_i32_e32 v11, 31, v10
	v_ashrrev_i32_e32 v13, 31, v12
	v_ashrrev_i32_e32 v15, 31, v14
	v_lshlrev_b64 v[6:7], 3, v[6:7]
	v_lshlrev_b64 v[8:9], 3, v[8:9]
	;; [unrolled: 1-line block ×3, first 2 shown]
	v_add_nc_u32_e32 v16, s1, v0
	v_lshlrev_b64 v[12:13], 3, v[12:13]
	v_lshlrev_b64 v[14:15], 3, v[14:15]
	v_add_co_u32 v18, vcc_lo, s2, v6
	v_add_co_ci_u32_e64 v19, null, s3, v7, vcc_lo
	v_add_co_u32 v20, vcc_lo, s12, v6
	v_add_co_ci_u32_e64 v21, null, s13, v7, vcc_lo
	v_add_co_u32 v8, vcc_lo, s2, v8
	v_add_co_ci_u32_e64 v9, null, s3, v9, vcc_lo
	v_add_co_u32 v22, vcc_lo, s14, v6
	v_add_co_ci_u32_e64 v23, null, s15, v7, vcc_lo
	v_add_co_u32 v10, vcc_lo, s2, v10
	v_ashrrev_i32_e32 v17, 31, v16
	v_add_co_ci_u32_e64 v11, null, s3, v11, vcc_lo
	v_add_co_u32 v24, vcc_lo, s20, v12
	v_add_co_ci_u32_e64 v25, null, s21, v13, vcc_lo
	v_add_co_u32 v14, vcc_lo, s2, v14
	v_lshlrev_b64 v[16:17], 3, v[16:17]
	v_add_co_ci_u32_e64 v15, null, s3, v15, vcc_lo
	v_add_co_u32 v12, vcc_lo, s22, v12
	v_add_co_ci_u32_e64 v13, null, s23, v13, vcc_lo
	v_add_co_u32 v6, vcc_lo, s10, v6
	;; [unrolled: 2-line block ×3, first 2 shown]
	v_add_co_ci_u32_e64 v17, null, s3, v17, vcc_lo
	global_load_dwordx2 v[6:7], v[6:7], off
	global_load_dwordx2 v[20:21], v[20:21], off
	;; [unrolled: 1-line block ×6, first 2 shown]
	s_clause 0x1
	global_load_dwordx2 v[14:15], v[14:15], off
	global_load_dwordx2 v[26:27], v[18:19], off
	;; [unrolled: 1-line block ×4, first 2 shown]
	v_subrev_nc_u32_e32 v1, s17, v1
	v_subrev_nc_u32_e32 v2, s18, v2
	;; [unrolled: 1-line block ×6, first 2 shown]
	s_add_i32 s0, s0, -1
	s_cmp_lg_u32 s0, 0
	s_waitcnt vmcnt(9)
	v_mul_f32_e32 v28, v7, v7
	s_waitcnt vmcnt(7)
	v_mul_f32_e64 v29, v9, -v21
	v_mul_f32_e32 v9, v9, v20
	s_waitcnt vmcnt(5)
	v_mul_f32_e64 v30, v11, -v23
	v_fmac_f32_e32 v28, v6, v6
	v_mul_f32_e32 v11, v11, v22
	v_fmac_f32_e32 v29, v20, v8
	v_fmac_f32_e32 v9, v21, v8
	;; [unrolled: 1-line block ×3, first 2 shown]
	v_div_scale_f32 v32, null, v28, v28, 1.0
	v_fmac_f32_e32 v11, v23, v10
	s_waitcnt vmcnt(2)
	v_sub_f32_e32 v9, v27, v9
	v_div_scale_f32 v10, vcc_lo, 1.0, v28, 1.0
	v_rcp_f32_e32 v34, v32
	v_mul_f32_e64 v31, v15, -v25
	v_mul_f32_e32 v15, v15, v24
	s_waitcnt vmcnt(0)
	v_mul_f32_e64 v33, v17, -v13
	v_sub_f32_e32 v9, v9, v11
	v_mul_f32_e32 v17, v17, v12
	v_fmac_f32_e32 v31, v24, v14
	v_fmac_f32_e32 v15, v25, v14
	;; [unrolled: 1-line block ×3, first 2 shown]
	v_fma_f32 v8, -v32, v34, 1.0
	v_fmac_f32_e32 v17, v13, v16
	v_sub_f32_e32 v9, v9, v15
	v_fmac_f32_e32 v34, v8, v34
	v_sub_f32_e32 v8, v26, v29
	v_sub_f32_e32 v9, v9, v17
	v_mul_f32_e32 v11, v10, v34
	v_sub_f32_e32 v8, v8, v30
	v_fma_f32 v12, -v32, v11, v10
	v_sub_f32_e32 v8, v8, v31
	v_fmac_f32_e32 v11, v12, v34
	v_sub_f32_e32 v8, v8, v33
	v_mul_f32_e32 v12, v7, v9
	v_fma_f32 v10, -v32, v11, v10
	v_mul_f32_e64 v7, v7, -v8
	v_fmac_f32_e32 v12, v8, v6
	v_div_fmas_f32 v10, v10, v34, v11
	v_fmac_f32_e32 v7, v9, v6
	v_div_fixup_f32 v8, v10, v28, 1.0
	v_mul_f32_e32 v6, v8, v12
	v_mul_f32_e32 v7, v8, v7
	global_store_dwordx2 v[18:19], v[6:7], off
	s_cbranch_scc1 .LBB8_24
.LBB8_25:
	s_endpgm
	.section	.rodata,"a",@progbits
	.p2align	6, 0x0
	.amdhsa_kernel _ZN9rocsparseL39gpsv_interleaved_batch_givens_qr_kernelILj128E21rocsparse_complex_numIfEEEviiiPT0_S4_S4_S4_S4_S4_S4_S4_
		.amdhsa_group_segment_fixed_size 0
		.amdhsa_private_segment_fixed_size 0
		.amdhsa_kernarg_size 80
		.amdhsa_user_sgpr_count 6
		.amdhsa_user_sgpr_private_segment_buffer 1
		.amdhsa_user_sgpr_dispatch_ptr 0
		.amdhsa_user_sgpr_queue_ptr 0
		.amdhsa_user_sgpr_kernarg_segment_ptr 1
		.amdhsa_user_sgpr_dispatch_id 0
		.amdhsa_user_sgpr_flat_scratch_init 0
		.amdhsa_user_sgpr_private_segment_size 0
		.amdhsa_wavefront_size32 1
		.amdhsa_uses_dynamic_stack 0
		.amdhsa_system_sgpr_private_segment_wavefront_offset 0
		.amdhsa_system_sgpr_workgroup_id_x 1
		.amdhsa_system_sgpr_workgroup_id_y 0
		.amdhsa_system_sgpr_workgroup_id_z 0
		.amdhsa_system_sgpr_workgroup_info 0
		.amdhsa_system_vgpr_workitem_id 0
		.amdhsa_next_free_vgpr 65
		.amdhsa_next_free_sgpr 26
		.amdhsa_reserve_vcc 1
		.amdhsa_reserve_flat_scratch 0
		.amdhsa_float_round_mode_32 0
		.amdhsa_float_round_mode_16_64 0
		.amdhsa_float_denorm_mode_32 3
		.amdhsa_float_denorm_mode_16_64 3
		.amdhsa_dx10_clamp 1
		.amdhsa_ieee_mode 1
		.amdhsa_fp16_overflow 0
		.amdhsa_workgroup_processor_mode 1
		.amdhsa_memory_ordered 1
		.amdhsa_forward_progress 1
		.amdhsa_shared_vgpr_count 0
		.amdhsa_exception_fp_ieee_invalid_op 0
		.amdhsa_exception_fp_denorm_src 0
		.amdhsa_exception_fp_ieee_div_zero 0
		.amdhsa_exception_fp_ieee_overflow 0
		.amdhsa_exception_fp_ieee_underflow 0
		.amdhsa_exception_fp_ieee_inexact 0
		.amdhsa_exception_int_div_zero 0
	.end_amdhsa_kernel
	.section	.text._ZN9rocsparseL39gpsv_interleaved_batch_givens_qr_kernelILj128E21rocsparse_complex_numIfEEEviiiPT0_S4_S4_S4_S4_S4_S4_S4_,"axG",@progbits,_ZN9rocsparseL39gpsv_interleaved_batch_givens_qr_kernelILj128E21rocsparse_complex_numIfEEEviiiPT0_S4_S4_S4_S4_S4_S4_S4_,comdat
.Lfunc_end8:
	.size	_ZN9rocsparseL39gpsv_interleaved_batch_givens_qr_kernelILj128E21rocsparse_complex_numIfEEEviiiPT0_S4_S4_S4_S4_S4_S4_S4_, .Lfunc_end8-_ZN9rocsparseL39gpsv_interleaved_batch_givens_qr_kernelILj128E21rocsparse_complex_numIfEEEviiiPT0_S4_S4_S4_S4_S4_S4_S4_
                                        ; -- End function
	.set _ZN9rocsparseL39gpsv_interleaved_batch_givens_qr_kernelILj128E21rocsparse_complex_numIfEEEviiiPT0_S4_S4_S4_S4_S4_S4_S4_.num_vgpr, 65
	.set _ZN9rocsparseL39gpsv_interleaved_batch_givens_qr_kernelILj128E21rocsparse_complex_numIfEEEviiiPT0_S4_S4_S4_S4_S4_S4_S4_.num_agpr, 0
	.set _ZN9rocsparseL39gpsv_interleaved_batch_givens_qr_kernelILj128E21rocsparse_complex_numIfEEEviiiPT0_S4_S4_S4_S4_S4_S4_S4_.numbered_sgpr, 26
	.set _ZN9rocsparseL39gpsv_interleaved_batch_givens_qr_kernelILj128E21rocsparse_complex_numIfEEEviiiPT0_S4_S4_S4_S4_S4_S4_S4_.num_named_barrier, 0
	.set _ZN9rocsparseL39gpsv_interleaved_batch_givens_qr_kernelILj128E21rocsparse_complex_numIfEEEviiiPT0_S4_S4_S4_S4_S4_S4_S4_.private_seg_size, 0
	.set _ZN9rocsparseL39gpsv_interleaved_batch_givens_qr_kernelILj128E21rocsparse_complex_numIfEEEviiiPT0_S4_S4_S4_S4_S4_S4_S4_.uses_vcc, 1
	.set _ZN9rocsparseL39gpsv_interleaved_batch_givens_qr_kernelILj128E21rocsparse_complex_numIfEEEviiiPT0_S4_S4_S4_S4_S4_S4_S4_.uses_flat_scratch, 0
	.set _ZN9rocsparseL39gpsv_interleaved_batch_givens_qr_kernelILj128E21rocsparse_complex_numIfEEEviiiPT0_S4_S4_S4_S4_S4_S4_S4_.has_dyn_sized_stack, 0
	.set _ZN9rocsparseL39gpsv_interleaved_batch_givens_qr_kernelILj128E21rocsparse_complex_numIfEEEviiiPT0_S4_S4_S4_S4_S4_S4_S4_.has_recursion, 0
	.set _ZN9rocsparseL39gpsv_interleaved_batch_givens_qr_kernelILj128E21rocsparse_complex_numIfEEEviiiPT0_S4_S4_S4_S4_S4_S4_S4_.has_indirect_call, 0
	.section	.AMDGPU.csdata,"",@progbits
; Kernel info:
; codeLenInByte = 6584
; TotalNumSgprs: 28
; NumVgprs: 65
; ScratchSize: 0
; MemoryBound: 0
; FloatMode: 240
; IeeeMode: 1
; LDSByteSize: 0 bytes/workgroup (compile time only)
; SGPRBlocks: 0
; VGPRBlocks: 8
; NumSGPRsForWavesPerEU: 28
; NumVGPRsForWavesPerEU: 65
; Occupancy: 12
; WaveLimiterHint : 0
; COMPUTE_PGM_RSRC2:SCRATCH_EN: 0
; COMPUTE_PGM_RSRC2:USER_SGPR: 6
; COMPUTE_PGM_RSRC2:TRAP_HANDLER: 0
; COMPUTE_PGM_RSRC2:TGID_X_EN: 1
; COMPUTE_PGM_RSRC2:TGID_Y_EN: 0
; COMPUTE_PGM_RSRC2:TGID_Z_EN: 0
; COMPUTE_PGM_RSRC2:TIDIG_COMP_CNT: 0
	.section	.text._ZN9rocsparseL19gpsv_strided_gatherILj256E21rocsparse_complex_numIdEEEviiiPKT0_PS3_,"axG",@progbits,_ZN9rocsparseL19gpsv_strided_gatherILj256E21rocsparse_complex_numIdEEEviiiPKT0_PS3_,comdat
	.globl	_ZN9rocsparseL19gpsv_strided_gatherILj256E21rocsparse_complex_numIdEEEviiiPKT0_PS3_ ; -- Begin function _ZN9rocsparseL19gpsv_strided_gatherILj256E21rocsparse_complex_numIdEEEviiiPKT0_PS3_
	.p2align	8
	.type	_ZN9rocsparseL19gpsv_strided_gatherILj256E21rocsparse_complex_numIdEEEviiiPKT0_PS3_,@function
_ZN9rocsparseL19gpsv_strided_gatherILj256E21rocsparse_complex_numIdEEEviiiPKT0_PS3_: ; @_ZN9rocsparseL19gpsv_strided_gatherILj256E21rocsparse_complex_numIdEEEviiiPKT0_PS3_
; %bb.0:
	s_clause 0x1
	s_load_dword s7, s[4:5], 0x2c
	s_load_dwordx4 s[0:3], s[4:5], 0x0
	s_waitcnt lgkmcnt(0)
	s_and_b32 s3, s7, 0xffff
	s_cmp_gt_i32 s0, 0
	v_mad_u64_u32 v[0:1], null, s6, s3, v[0:1]
	s_cselect_b32 s3, -1, 0
	v_cmp_gt_i32_e32 vcc_lo, s1, v0
	s_and_b32 s3, vcc_lo, s3
	s_and_saveexec_b32 s6, s3
	s_cbranch_execz .LBB9_3
; %bb.1:
	s_load_dwordx4 s[4:7], s[4:5], 0x10
	v_mov_b32_e32 v2, v0
	.p2align	6
.LBB9_2:                                ; =>This Inner Loop Header: Depth=1
	v_ashrrev_i32_e32 v1, 31, v0
	s_add_i32 s0, s0, -1
	s_cmp_lg_u32 s0, 0
	v_lshlrev_b64 v[3:4], 4, v[0:1]
	v_add_nc_u32_e32 v0, s2, v0
	s_waitcnt lgkmcnt(0)
	v_add_co_u32 v3, vcc_lo, s4, v3
	v_add_co_ci_u32_e64 v4, null, s5, v4, vcc_lo
	global_load_dwordx4 v[4:7], v[3:4], off
	v_ashrrev_i32_e32 v3, 31, v2
	v_lshlrev_b64 v[8:9], 4, v[2:3]
	v_add_nc_u32_e32 v2, s1, v2
	v_add_co_u32 v8, vcc_lo, s6, v8
	v_add_co_ci_u32_e64 v9, null, s7, v9, vcc_lo
	s_waitcnt vmcnt(0)
	global_store_dwordx4 v[8:9], v[4:7], off
	s_cbranch_scc1 .LBB9_2
.LBB9_3:
	s_endpgm
	.section	.rodata,"a",@progbits
	.p2align	6, 0x0
	.amdhsa_kernel _ZN9rocsparseL19gpsv_strided_gatherILj256E21rocsparse_complex_numIdEEEviiiPKT0_PS3_
		.amdhsa_group_segment_fixed_size 0
		.amdhsa_private_segment_fixed_size 0
		.amdhsa_kernarg_size 288
		.amdhsa_user_sgpr_count 6
		.amdhsa_user_sgpr_private_segment_buffer 1
		.amdhsa_user_sgpr_dispatch_ptr 0
		.amdhsa_user_sgpr_queue_ptr 0
		.amdhsa_user_sgpr_kernarg_segment_ptr 1
		.amdhsa_user_sgpr_dispatch_id 0
		.amdhsa_user_sgpr_flat_scratch_init 0
		.amdhsa_user_sgpr_private_segment_size 0
		.amdhsa_wavefront_size32 1
		.amdhsa_uses_dynamic_stack 0
		.amdhsa_system_sgpr_private_segment_wavefront_offset 0
		.amdhsa_system_sgpr_workgroup_id_x 1
		.amdhsa_system_sgpr_workgroup_id_y 0
		.amdhsa_system_sgpr_workgroup_id_z 0
		.amdhsa_system_sgpr_workgroup_info 0
		.amdhsa_system_vgpr_workitem_id 0
		.amdhsa_next_free_vgpr 10
		.amdhsa_next_free_sgpr 8
		.amdhsa_reserve_vcc 1
		.amdhsa_reserve_flat_scratch 0
		.amdhsa_float_round_mode_32 0
		.amdhsa_float_round_mode_16_64 0
		.amdhsa_float_denorm_mode_32 3
		.amdhsa_float_denorm_mode_16_64 3
		.amdhsa_dx10_clamp 1
		.amdhsa_ieee_mode 1
		.amdhsa_fp16_overflow 0
		.amdhsa_workgroup_processor_mode 1
		.amdhsa_memory_ordered 1
		.amdhsa_forward_progress 1
		.amdhsa_shared_vgpr_count 0
		.amdhsa_exception_fp_ieee_invalid_op 0
		.amdhsa_exception_fp_denorm_src 0
		.amdhsa_exception_fp_ieee_div_zero 0
		.amdhsa_exception_fp_ieee_overflow 0
		.amdhsa_exception_fp_ieee_underflow 0
		.amdhsa_exception_fp_ieee_inexact 0
		.amdhsa_exception_int_div_zero 0
	.end_amdhsa_kernel
	.section	.text._ZN9rocsparseL19gpsv_strided_gatherILj256E21rocsparse_complex_numIdEEEviiiPKT0_PS3_,"axG",@progbits,_ZN9rocsparseL19gpsv_strided_gatherILj256E21rocsparse_complex_numIdEEEviiiPKT0_PS3_,comdat
.Lfunc_end9:
	.size	_ZN9rocsparseL19gpsv_strided_gatherILj256E21rocsparse_complex_numIdEEEviiiPKT0_PS3_, .Lfunc_end9-_ZN9rocsparseL19gpsv_strided_gatherILj256E21rocsparse_complex_numIdEEEviiiPKT0_PS3_
                                        ; -- End function
	.set _ZN9rocsparseL19gpsv_strided_gatherILj256E21rocsparse_complex_numIdEEEviiiPKT0_PS3_.num_vgpr, 10
	.set _ZN9rocsparseL19gpsv_strided_gatherILj256E21rocsparse_complex_numIdEEEviiiPKT0_PS3_.num_agpr, 0
	.set _ZN9rocsparseL19gpsv_strided_gatherILj256E21rocsparse_complex_numIdEEEviiiPKT0_PS3_.numbered_sgpr, 8
	.set _ZN9rocsparseL19gpsv_strided_gatherILj256E21rocsparse_complex_numIdEEEviiiPKT0_PS3_.num_named_barrier, 0
	.set _ZN9rocsparseL19gpsv_strided_gatherILj256E21rocsparse_complex_numIdEEEviiiPKT0_PS3_.private_seg_size, 0
	.set _ZN9rocsparseL19gpsv_strided_gatherILj256E21rocsparse_complex_numIdEEEviiiPKT0_PS3_.uses_vcc, 1
	.set _ZN9rocsparseL19gpsv_strided_gatherILj256E21rocsparse_complex_numIdEEEviiiPKT0_PS3_.uses_flat_scratch, 0
	.set _ZN9rocsparseL19gpsv_strided_gatherILj256E21rocsparse_complex_numIdEEEviiiPKT0_PS3_.has_dyn_sized_stack, 0
	.set _ZN9rocsparseL19gpsv_strided_gatherILj256E21rocsparse_complex_numIdEEEviiiPKT0_PS3_.has_recursion, 0
	.set _ZN9rocsparseL19gpsv_strided_gatherILj256E21rocsparse_complex_numIdEEEviiiPKT0_PS3_.has_indirect_call, 0
	.section	.AMDGPU.csdata,"",@progbits
; Kernel info:
; codeLenInByte = 232
; TotalNumSgprs: 10
; NumVgprs: 10
; ScratchSize: 0
; MemoryBound: 0
; FloatMode: 240
; IeeeMode: 1
; LDSByteSize: 0 bytes/workgroup (compile time only)
; SGPRBlocks: 0
; VGPRBlocks: 1
; NumSGPRsForWavesPerEU: 10
; NumVGPRsForWavesPerEU: 10
; Occupancy: 16
; WaveLimiterHint : 0
; COMPUTE_PGM_RSRC2:SCRATCH_EN: 0
; COMPUTE_PGM_RSRC2:USER_SGPR: 6
; COMPUTE_PGM_RSRC2:TRAP_HANDLER: 0
; COMPUTE_PGM_RSRC2:TGID_X_EN: 1
; COMPUTE_PGM_RSRC2:TGID_Y_EN: 0
; COMPUTE_PGM_RSRC2:TGID_Z_EN: 0
; COMPUTE_PGM_RSRC2:TIDIG_COMP_CNT: 0
	.section	.text._ZN9rocsparseL44gpsv_interleaved_batch_householder_qr_kernelILj256E21rocsparse_complex_numIdEEEviiiPT0_S4_S4_S4_S4_S4_S4_S4_S4_,"axG",@progbits,_ZN9rocsparseL44gpsv_interleaved_batch_householder_qr_kernelILj256E21rocsparse_complex_numIdEEEviiiPT0_S4_S4_S4_S4_S4_S4_S4_S4_,comdat
	.globl	_ZN9rocsparseL44gpsv_interleaved_batch_householder_qr_kernelILj256E21rocsparse_complex_numIdEEEviiiPT0_S4_S4_S4_S4_S4_S4_S4_S4_ ; -- Begin function _ZN9rocsparseL44gpsv_interleaved_batch_householder_qr_kernelILj256E21rocsparse_complex_numIdEEEviiiPT0_S4_S4_S4_S4_S4_S4_S4_S4_
	.p2align	8
	.type	_ZN9rocsparseL44gpsv_interleaved_batch_householder_qr_kernelILj256E21rocsparse_complex_numIdEEEviiiPT0_S4_S4_S4_S4_S4_S4_S4_S4_,@function
_ZN9rocsparseL44gpsv_interleaved_batch_householder_qr_kernelILj256E21rocsparse_complex_numIdEEEviiiPT0_S4_S4_S4_S4_S4_S4_S4_S4_: ; @_ZN9rocsparseL44gpsv_interleaved_batch_householder_qr_kernelILj256E21rocsparse_complex_numIdEEEviiiPT0_S4_S4_S4_S4_S4_S4_S4_S4_
; %bb.0:
	s_clause 0x1
	s_load_dword s0, s[4:5], 0x64
	s_load_dwordx4 s[8:11], s[4:5], 0x0
	s_waitcnt lgkmcnt(0)
	s_and_b32 s0, s0, 0xffff
	s_mul_i32 s3, s6, s0
	s_mov_b32 s0, exec_lo
	v_add_nc_u32_e32 v1, s3, v0
	v_cmpx_gt_i32_e64 s9, v1
	s_cbranch_execz .LBB10_32
; %bb.1:
	s_clause 0x3
	s_load_dwordx2 s[6:7], s[4:5], 0x50
	s_load_dwordx4 s[12:15], s[4:5], 0x40
	s_load_dwordx4 s[16:19], s[4:5], 0x20
	s_load_dwordx2 s[24:25], s[4:5], 0x30
	s_add_i32 s11, s8, -1
	s_cmp_lt_i32 s8, 2
	s_cbranch_scc1 .LBB10_19
; %bb.2:
	s_load_dwordx4 s[20:23], s[4:5], 0x10
	v_add_nc_u32_e32 v83, s9, v0
	v_lshl_add_u32 v84, s9, 1, v0
	v_add_nc_u32_e32 v85, s10, v0
	v_lshl_add_u32 v86, s10, 1, v0
	v_mov_b32_e32 v87, v0
	v_mov_b32_e32 v88, v0
	s_mov_b32 s26, s11
	s_branch .LBB10_4
.LBB10_3:                               ;   in Loop: Header=BB10_4 Depth=1
	s_or_b32 exec_lo, exec_lo, s28
	v_add_nc_u32_e32 v83, s9, v83
	v_add_nc_u32_e32 v84, s9, v84
	;; [unrolled: 1-line block ×6, first 2 shown]
	s_add_i32 s26, s26, -1
	s_cmp_eq_u32 s26, 0
	s_cbranch_scc1 .LBB10_19
.LBB10_4:                               ; =>This Inner Loop Header: Depth=1
	s_waitcnt vmcnt(0)
	v_add_nc_u32_e32 v1, s3, v85
	v_add_nc_u32_e32 v3, s3, v83
	v_mov_b32_e32 v17, 0
	v_mov_b32_e32 v19, 0
	;; [unrolled: 1-line block ×3, first 2 shown]
	v_ashrrev_i32_e32 v2, 31, v1
	v_ashrrev_i32_e32 v4, 31, v3
	v_mov_b32_e32 v27, 0
	v_mov_b32_e32 v29, 0
	;; [unrolled: 1-line block ×3, first 2 shown]
	v_lshlrev_b64 v[1:2], 4, v[1:2]
	v_lshlrev_b64 v[67:68], 4, v[3:4]
	v_mov_b32_e32 v3, 0
	v_mov_b32_e32 v33, 0
	;; [unrolled: 1-line block ×4, first 2 shown]
	s_waitcnt lgkmcnt(0)
	v_add_co_u32 v65, vcc_lo, s22, v1
	v_add_co_ci_u32_e64 v66, null, s23, v2, vcc_lo
	v_add_co_u32 v55, vcc_lo, s16, v1
	v_add_co_ci_u32_e64 v56, null, s17, v2, vcc_lo
	;; [unrolled: 2-line block ×5, first 2 shown]
	global_load_dwordx4 v[37:40], v[65:66], off
	global_load_dwordx4 v[13:16], v[55:56], off
	global_load_dwordx4 v[9:12], v[57:58], off
	global_load_dwordx4 v[5:8], v[61:62], off
	global_load_dwordx4 v[21:24], v[63:64], off
	v_mov_b32_e32 v1, 0
	v_mov_b32_e32 v43, 0
	v_add_nc_u32_e32 v59, s3, v86
	v_mov_b32_e32 v2, 0
	v_mov_b32_e32 v4, 0
	;; [unrolled: 1-line block ×12, first 2 shown]
	v_add_nc_u32_e32 v53, s3, v84
	s_cmp_lg_u32 s26, 1
	s_cselect_b32 s27, -1, 0
	s_cmp_eq_u32 s26, 1
	s_cbranch_scc1 .LBB10_6
; %bb.5:                                ;   in Loop: Header=BB10_4 Depth=1
	v_ashrrev_i32_e32 v60, 31, v59
	v_ashrrev_i32_e32 v54, 31, v53
	v_lshlrev_b64 v[1:2], 4, v[59:60]
	v_lshlrev_b64 v[25:26], 4, v[53:54]
	v_add_co_u32 v3, vcc_lo, s20, v1
	v_add_co_ci_u32_e64 v4, null, s21, v2, vcc_lo
	v_add_co_u32 v17, vcc_lo, s22, v1
	v_add_co_ci_u32_e64 v18, null, s23, v2, vcc_lo
	;; [unrolled: 2-line block ×3, first 2 shown]
	global_load_dwordx4 v[41:44], v[3:4], off
	v_add_co_u32 v3, vcc_lo, s18, v1
	v_add_co_ci_u32_e64 v4, null, s19, v2, vcc_lo
	v_add_co_u32 v1, vcc_lo, s24, v1
	v_add_co_ci_u32_e64 v2, null, s25, v2, vcc_lo
	v_add_co_u32 v45, vcc_lo, s6, v25
	v_add_co_ci_u32_e64 v46, null, s7, v26, vcc_lo
	global_load_dwordx4 v[33:36], v[17:18], off
	global_load_dwordx4 v[29:32], v[19:20], off
	;; [unrolled: 1-line block ×5, first 2 shown]
.LBB10_6:                               ;   in Loop: Header=BB10_4 Depth=1
	s_waitcnt vmcnt(5)
	v_mul_f64 v[45:46], v[43:44], -v[43:44]
	v_mul_f64 v[47:48], v[41:42], v[43:44]
	v_fma_f64 v[45:46], v[41:42], v[41:42], v[45:46]
	v_fma_f64 v[47:48], v[43:44], v[41:42], v[47:48]
	s_waitcnt vmcnt(4)
	v_fma_f64 v[45:46], v[37:38], v[37:38], v[45:46]
	v_fma_f64 v[47:48], v[39:40], v[37:38], v[47:48]
	v_fma_f64 v[49:50], -v[39:40], v[39:40], v[45:46]
	v_fma_f64 v[51:52], v[37:38], v[39:40], v[47:48]
	v_cmp_neq_f64_e32 vcc_lo, 0, v[49:50]
	v_cmp_neq_f64_e64 s0, 0, v[51:52]
	s_or_b32 s0, vcc_lo, s0
	s_and_saveexec_b32 s28, s0
	s_cbranch_execz .LBB10_3
; %bb.7:                                ;   in Loop: Header=BB10_4 Depth=1
	v_add_nc_u32_e32 v45, s3, v87
	s_mov_b32 s1, exec_lo
                                        ; implicit-def: $vgpr79_vgpr80
	v_ashrrev_i32_e32 v46, 31, v45
	v_lshlrev_b64 v[71:72], 4, v[45:46]
	v_add_co_u32 v69, vcc_lo, s16, v71
	v_add_co_ci_u32_e64 v70, null, s17, v72, vcc_lo
	global_load_dwordx4 v[45:48], v[69:70], off
	s_waitcnt vmcnt(0)
	v_fma_f64 v[73:74], v[45:46], v[45:46], v[49:50]
	v_fma_f64 v[75:76], v[47:48], v[45:46], v[51:52]
	v_fma_f64 v[73:74], -v[47:48], v[47:48], v[73:74]
	v_fma_f64 v[81:82], v[45:46], v[47:48], v[75:76]
	v_cmp_gt_f64_e32 vcc_lo, 0, v[73:74]
	v_cmp_gt_f64_e64 s0, 0, v[81:82]
	v_xor_b32_e32 v54, 0x80000000, v74
	v_xor_b32_e32 v60, 0x80000000, v82
	v_mov_b32_e32 v75, v73
	v_mov_b32_e32 v77, v81
	v_cndmask_b32_e32 v76, v74, v54, vcc_lo
	v_cndmask_b32_e64 v78, v82, v60, s0
	v_cmpx_ngt_f64_e32 v[75:76], v[77:78]
	s_xor_b32 s1, exec_lo, s1
	s_cbranch_execz .LBB10_11
; %bb.8:                                ;   in Loop: Header=BB10_4 Depth=1
	v_mov_b32_e32 v79, 0
	v_mov_b32_e32 v80, 0
	s_mov_b32 s2, exec_lo
	v_cmpx_neq_f64_e32 0, v[81:82]
	s_cbranch_execz .LBB10_10
; %bb.9:                                ;   in Loop: Header=BB10_4 Depth=1
	v_div_scale_f64 v[79:80], null, v[77:78], v[77:78], v[75:76]
	v_div_scale_f64 v[91:92], vcc_lo, v[75:76], v[77:78], v[75:76]
	v_rcp_f64_e32 v[81:82], v[79:80]
	v_fma_f64 v[89:90], -v[79:80], v[81:82], 1.0
	v_fma_f64 v[81:82], v[81:82], v[89:90], v[81:82]
	v_fma_f64 v[89:90], -v[79:80], v[81:82], 1.0
	v_fma_f64 v[81:82], v[81:82], v[89:90], v[81:82]
	v_mul_f64 v[89:90], v[91:92], v[81:82]
	v_fma_f64 v[79:80], -v[79:80], v[89:90], v[91:92]
	v_div_fmas_f64 v[79:80], v[79:80], v[81:82], v[89:90]
	v_div_fixup_f64 v[75:76], v[79:80], v[77:78], v[75:76]
	v_fma_f64 v[75:76], v[75:76], v[75:76], 1.0
	v_cmp_gt_f64_e32 vcc_lo, 0x10000000, v[75:76]
	v_cndmask_b32_e64 v54, 0, 0x100, vcc_lo
	v_ldexp_f64 v[75:76], v[75:76], v54
	v_cndmask_b32_e64 v54, 0, 0xffffff80, vcc_lo
	v_rsq_f64_e32 v[79:80], v[75:76]
	v_cmp_class_f64_e64 vcc_lo, v[75:76], 0x260
	v_mul_f64 v[81:82], v[75:76], v[79:80]
	v_mul_f64 v[79:80], v[79:80], 0.5
	v_fma_f64 v[89:90], -v[79:80], v[81:82], 0.5
	v_fma_f64 v[81:82], v[81:82], v[89:90], v[81:82]
	v_fma_f64 v[79:80], v[79:80], v[89:90], v[79:80]
	v_fma_f64 v[89:90], -v[81:82], v[81:82], v[75:76]
	v_fma_f64 v[81:82], v[89:90], v[79:80], v[81:82]
	v_fma_f64 v[89:90], -v[81:82], v[81:82], v[75:76]
	v_fma_f64 v[79:80], v[89:90], v[79:80], v[81:82]
	v_ldexp_f64 v[79:80], v[79:80], v54
	v_cndmask_b32_e32 v76, v80, v76, vcc_lo
	v_cndmask_b32_e32 v75, v79, v75, vcc_lo
	v_mul_f64 v[79:80], v[77:78], v[75:76]
.LBB10_10:                              ;   in Loop: Header=BB10_4 Depth=1
	s_or_b32 exec_lo, exec_lo, s2
                                        ; implicit-def: $vgpr75_vgpr76
                                        ; implicit-def: $vgpr77_vgpr78
.LBB10_11:                              ;   in Loop: Header=BB10_4 Depth=1
	s_andn2_saveexec_b32 s1, s1
	s_cbranch_execz .LBB10_13
; %bb.12:                               ;   in Loop: Header=BB10_4 Depth=1
	v_div_scale_f64 v[79:80], null, v[75:76], v[75:76], v[77:78]
	v_div_scale_f64 v[91:92], vcc_lo, v[77:78], v[75:76], v[77:78]
	v_rcp_f64_e32 v[81:82], v[79:80]
	v_fma_f64 v[89:90], -v[79:80], v[81:82], 1.0
	v_fma_f64 v[81:82], v[81:82], v[89:90], v[81:82]
	v_fma_f64 v[89:90], -v[79:80], v[81:82], 1.0
	v_fma_f64 v[81:82], v[81:82], v[89:90], v[81:82]
	v_mul_f64 v[89:90], v[91:92], v[81:82]
	v_fma_f64 v[79:80], -v[79:80], v[89:90], v[91:92]
	v_div_fmas_f64 v[79:80], v[79:80], v[81:82], v[89:90]
	v_div_fixup_f64 v[77:78], v[79:80], v[75:76], v[77:78]
	v_fma_f64 v[77:78], v[77:78], v[77:78], 1.0
	v_cmp_gt_f64_e32 vcc_lo, 0x10000000, v[77:78]
	v_cndmask_b32_e64 v54, 0, 0x100, vcc_lo
	v_ldexp_f64 v[77:78], v[77:78], v54
	v_cndmask_b32_e64 v54, 0, 0xffffff80, vcc_lo
	v_rsq_f64_e32 v[79:80], v[77:78]
	v_cmp_class_f64_e64 vcc_lo, v[77:78], 0x260
	v_mul_f64 v[81:82], v[77:78], v[79:80]
	v_mul_f64 v[79:80], v[79:80], 0.5
	v_fma_f64 v[89:90], -v[79:80], v[81:82], 0.5
	v_fma_f64 v[81:82], v[81:82], v[89:90], v[81:82]
	v_fma_f64 v[79:80], v[79:80], v[89:90], v[79:80]
	v_fma_f64 v[89:90], -v[81:82], v[81:82], v[77:78]
	v_fma_f64 v[81:82], v[89:90], v[79:80], v[81:82]
	v_fma_f64 v[89:90], -v[81:82], v[81:82], v[77:78]
	v_fma_f64 v[79:80], v[89:90], v[79:80], v[81:82]
	v_ldexp_f64 v[79:80], v[79:80], v54
	v_cndmask_b32_e32 v78, v80, v78, vcc_lo
	v_cndmask_b32_e32 v77, v79, v77, vcc_lo
	v_mul_f64 v[79:80], v[75:76], v[77:78]
.LBB10_13:                              ;   in Loop: Header=BB10_4 Depth=1
	s_or_b32 exec_lo, exec_lo, s1
	v_add_f64 v[75:76], v[79:80], -v[73:74]
	v_add_f64 v[73:74], v[73:74], v[79:80]
	v_mul_f64 v[75:76], v[75:76], 0.5
	v_mul_f64 v[73:74], v[73:74], 0.5
	v_cmp_gt_f64_e32 vcc_lo, 0x10000000, v[75:76]
	v_cmp_gt_f64_e64 s1, 0x10000000, v[73:74]
	v_cndmask_b32_e64 v54, 0, 0x100, vcc_lo
	v_ldexp_f64 v[75:76], v[75:76], v54
	v_cndmask_b32_e64 v54, 0, 0x100, s1
	v_ldexp_f64 v[73:74], v[73:74], v54
	v_cndmask_b32_e64 v54, 0, 0xffffff80, vcc_lo
	v_rsq_f64_e32 v[77:78], v[75:76]
	v_cmp_class_f64_e64 vcc_lo, v[75:76], 0x260
	v_rsq_f64_e32 v[79:80], v[73:74]
	v_mul_f64 v[81:82], v[75:76], v[77:78]
	v_mul_f64 v[77:78], v[77:78], 0.5
	v_mul_f64 v[89:90], v[73:74], v[79:80]
	v_mul_f64 v[79:80], v[79:80], 0.5
	v_fma_f64 v[91:92], -v[77:78], v[81:82], 0.5
	v_fma_f64 v[93:94], -v[79:80], v[89:90], 0.5
	v_fma_f64 v[81:82], v[81:82], v[91:92], v[81:82]
	v_fma_f64 v[77:78], v[77:78], v[91:92], v[77:78]
	;; [unrolled: 1-line block ×4, first 2 shown]
	v_fma_f64 v[91:92], -v[81:82], v[81:82], v[75:76]
	v_fma_f64 v[93:94], -v[89:90], v[89:90], v[73:74]
	v_fma_f64 v[81:82], v[91:92], v[77:78], v[81:82]
	v_fma_f64 v[89:90], v[93:94], v[79:80], v[89:90]
	v_fma_f64 v[91:92], -v[81:82], v[81:82], v[75:76]
	v_fma_f64 v[93:94], -v[89:90], v[89:90], v[73:74]
	v_fma_f64 v[77:78], v[91:92], v[77:78], v[81:82]
	v_fma_f64 v[79:80], v[93:94], v[79:80], v[89:90]
	v_ldexp_f64 v[77:78], v[77:78], v54
	v_cndmask_b32_e64 v54, 0, 0xffffff80, s1
	v_cmp_class_f64_e64 s1, v[73:74], 0x260
	v_ldexp_f64 v[79:80], v[79:80], v54
	v_cndmask_b32_e32 v54, v78, v76, vcc_lo
	v_cndmask_b32_e32 v77, v77, v75, vcc_lo
                                        ; implicit-def: $vgpr75_vgpr76
	v_xor_b32_e32 v60, 0x80000000, v54
	v_cndmask_b32_e64 v80, v80, v74, s1
	v_cndmask_b32_e64 v79, v79, v73, s1
                                        ; implicit-def: $vgpr73_vgpr74
	v_cndmask_b32_e64 v78, v54, v60, s0
	s_mov_b32 s0, exec_lo
	v_cmpx_nlt_f64_e32 0, v[45:46]
	s_xor_b32 s0, exec_lo, s0
	s_cbranch_execz .LBB10_15
; %bb.14:                               ;   in Loop: Header=BB10_4 Depth=1
	v_add_f64 v[73:74], v[45:46], -v[79:80]
	v_add_f64 v[75:76], v[47:48], -v[77:78]
                                        ; implicit-def: $vgpr79_vgpr80
                                        ; implicit-def: $vgpr77_vgpr78
.LBB10_15:                              ;   in Loop: Header=BB10_4 Depth=1
	s_andn2_saveexec_b32 s0, s0
	s_cbranch_execz .LBB10_17
; %bb.16:                               ;   in Loop: Header=BB10_4 Depth=1
	v_add_f64 v[73:74], v[45:46], v[79:80]
	v_add_f64 v[75:76], v[47:48], v[77:78]
.LBB10_17:                              ;   in Loop: Header=BB10_4 Depth=1
	s_or_b32 exec_lo, exec_lo, s0
	v_add_nc_u32_e32 v79, s3, v88
	v_mul_f64 v[77:78], v[75:76], v[75:76]
	v_mul_f64 v[93:94], v[73:74], v[75:76]
	v_mul_f64 v[97:98], v[75:76], -v[75:76]
	v_mul_f64 v[111:112], v[39:40], v[75:76]
	v_ashrrev_i32_e32 v80, 31, v79
	v_lshlrev_b64 v[81:82], 4, v[79:80]
	v_add_co_u32 v101, vcc_lo, s12, v81
	v_add_co_ci_u32_e64 v102, null, s13, v82, vcc_lo
	v_fma_f64 v[89:90], v[73:74], v[73:74], v[77:78]
	global_load_dwordx4 v[77:80], v[101:102], off
	v_fma_f64 v[93:94], v[75:76], v[73:74], v[93:94]
	v_fma_f64 v[97:98], v[73:74], v[73:74], v[97:98]
	v_div_scale_f64 v[91:92], null, v[89:90], v[89:90], 1.0
	v_add_f64 v[103:104], v[51:52], v[93:94]
	v_rcp_f64_e32 v[95:96], v[91:92]
	v_fma_f64 v[99:100], -v[91:92], v[95:96], 1.0
	v_fma_f64 v[51:52], v[95:96], v[99:100], v[95:96]
	v_add_f64 v[95:96], v[49:50], v[97:98]
	v_mul_f64 v[49:50], v[103:104], v[103:104]
	v_fma_f64 v[99:100], -v[91:92], v[51:52], 1.0
	v_fma_f64 v[105:106], v[95:96], v[95:96], v[49:50]
	v_div_scale_f64 v[49:50], vcc_lo, 1.0, v[89:90], 1.0
	v_fma_f64 v[51:52], v[51:52], v[99:100], v[51:52]
	v_div_scale_f64 v[99:100], null, v[105:106], v[105:106], 1.0
	v_mul_f64 v[107:108], v[49:50], v[51:52]
	v_rcp_f64_e32 v[109:110], v[99:100]
	v_fma_f64 v[49:50], -v[91:92], v[107:108], v[49:50]
	v_fma_f64 v[91:92], -v[99:100], v[109:110], 1.0
	v_div_fmas_f64 v[49:50], v[49:50], v[51:52], v[107:108]
	v_mul_f64 v[51:52], v[75:76], -v[37:38]
	v_div_scale_f64 v[113:114], vcc_lo, 1.0, v[105:106], 1.0
	v_fma_f64 v[107:108], v[109:110], v[91:92], v[109:110]
	v_fma_f64 v[91:92], v[37:38], v[73:74], v[111:112]
	v_mul_f64 v[111:112], v[43:44], v[75:76]
	v_mul_f64 v[75:76], v[75:76], -v[41:42]
	v_div_fixup_f64 v[109:110], v[49:50], v[89:90], 1.0
	v_fma_f64 v[49:50], v[39:40], v[73:74], v[51:52]
	v_fma_f64 v[51:52], -v[99:100], v[107:108], 1.0
	v_mul_f64 v[89:90], v[91:92], v[109:110]
	v_mul_f64 v[91:92], v[49:50], v[109:110]
	v_fma_f64 v[49:50], v[41:42], v[73:74], v[111:112]
	v_mul_f64 v[111:112], 0x80000000, v[93:94]
	v_fma_f64 v[107:108], v[107:108], v[51:52], v[107:108]
	v_fma_f64 v[51:52], v[43:44], v[73:74], v[75:76]
	v_add_f64 v[93:94], v[93:94], v[93:94]
	v_fma_f64 v[73:74], v[91:92], v[89:90], 0
	v_mul_f64 v[49:50], v[49:50], v[109:110]
	v_fma_f64 v[111:112], v[97:98], 2.0, v[111:112]
	v_mul_f64 v[75:76], v[113:114], v[107:108]
	v_mul_f64 v[51:52], v[51:52], v[109:110]
	v_fma_f64 v[109:110], v[89:90], v[89:90], 1.0
	v_fma_f64 v[93:94], v[97:98], 0, v[93:94]
	global_store_dwordx4 v[65:66], v[89:92], off
	v_fma_f64 v[73:74], v[89:90], v[91:92], v[73:74]
	v_mul_f64 v[97:98], v[103:104], -v[111:112]
	v_fma_f64 v[99:100], -v[99:100], v[75:76], v[113:114]
	v_add_co_u32 v113, s0, s12, v67
	v_add_co_ci_u32_e64 v114, null, s13, v68, s0
	v_fma_f64 v[67:68], v[89:90], v[37:38], v[45:46]
	v_fma_f64 v[37:38], v[91:92], v[37:38], v[47:48]
	v_fma_f64 v[109:110], -v[91:92], v[91:92], v[109:110]
	v_mul_f64 v[103:104], v[103:104], v[93:94]
	v_add_co_u32 v121, s0, s24, v71
	v_add_co_ci_u32_e64 v122, null, s25, v72, s0
	v_fma_f64 v[115:116], v[51:52], v[49:50], v[73:74]
	v_fma_f64 v[93:94], v[93:94], v[95:96], v[97:98]
	v_div_fmas_f64 v[99:100], v[99:100], v[107:108], v[75:76]
	global_load_dwordx4 v[73:76], v[113:114], off
	v_add_co_u32 v117, vcc_lo, s14, v81
	v_add_co_ci_u32_e64 v118, null, s15, v82, vcc_lo
	v_fma_f64 v[67:68], -v[91:92], v[39:40], v[67:68]
	v_fma_f64 v[37:38], v[89:90], v[39:40], v[37:38]
	s_waitcnt vmcnt(1)
	v_fma_f64 v[39:40], v[91:92], v[5:6], v[79:80]
	v_fma_f64 v[107:108], v[89:90], v[5:6], v[77:78]
	;; [unrolled: 1-line block ×4, first 2 shown]
	v_add_co_u32 v119, vcc_lo, s18, v71
	v_add_co_ci_u32_e64 v120, null, s19, v72, vcc_lo
	v_fma_f64 v[115:116], v[49:50], v[51:52], v[115:116]
	v_div_fixup_f64 v[97:98], v[99:100], v[105:106], 1.0
	v_fma_f64 v[37:38], v[51:52], v[41:42], v[37:38]
	v_fma_f64 v[39:40], v[89:90], v[7:8], v[39:40]
	v_fma_f64 v[107:108], -v[91:92], v[7:8], v[107:108]
	v_fma_f64 v[41:42], v[49:50], v[41:42], v[67:68]
	v_fma_f64 v[105:106], -v[51:52], v[51:52], v[109:110]
	v_mul_f64 v[99:100], v[115:116], v[115:116]
	v_mul_f64 v[111:112], v[97:98], v[95:96]
	v_fma_f64 v[37:38], v[49:50], v[43:44], v[37:38]
	v_fma_f64 v[39:40], v[51:52], v[25:26], v[39:40]
	;; [unrolled: 1-line block ×3, first 2 shown]
	v_mul_f64 v[107:108], v[97:98], v[93:94]
	v_fma_f64 v[41:42], -v[51:52], v[43:44], v[41:42]
	v_fma_f64 v[109:110], v[105:106], v[105:106], v[99:100]
	v_fma_f64 v[39:40], v[49:50], v[27:28], v[39:40]
	v_fma_f64 v[43:44], -v[51:52], v[27:28], v[67:68]
	v_mul_f64 v[67:68], v[107:108], -v[37:38]
	v_mul_f64 v[93:94], v[107:108], v[41:42]
	v_div_scale_f64 v[103:104], null, v[109:110], v[109:110], 1.0
	v_mul_f64 v[95:96], v[107:108], -v[39:40]
	v_mul_f64 v[97:98], v[107:108], v[43:44]
	v_fma_f64 v[41:42], v[41:42], v[111:112], v[67:68]
	v_fma_f64 v[99:100], v[37:38], v[111:112], v[93:94]
	v_rcp_f64_e32 v[67:68], v[103:104]
	v_fma_f64 v[37:38], v[43:44], v[111:112], v[95:96]
	global_load_dwordx4 v[93:96], v[117:118], off
	v_fma_f64 v[39:40], v[39:40], v[111:112], v[97:98]
	v_add_f64 v[97:98], v[45:46], -v[41:42]
	v_add_f64 v[99:100], v[47:48], -v[99:100]
	v_fma_f64 v[45:46], -v[103:104], v[67:68], 1.0
	v_add_f64 v[41:42], v[77:78], -v[37:38]
	v_add_f64 v[43:44], v[79:80], -v[39:40]
	global_load_dwordx4 v[77:80], v[119:120], off
	v_fma_f64 v[45:46], v[67:68], v[45:46], v[67:68]
	global_store_dwordx4 v[101:102], v[41:44], off
	v_fma_f64 v[41:42], -v[103:104], v[45:46], 1.0
	v_fma_f64 v[45:46], v[45:46], v[41:42], v[45:46]
	v_div_scale_f64 v[41:42], vcc_lo, 1.0, v[109:110], 1.0
	s_waitcnt vmcnt(1)
	v_fma_f64 v[47:48], v[89:90], v[73:74], v[93:94]
	v_fma_f64 v[43:44], v[91:92], v[73:74], v[95:96]
	v_fma_f64 v[73:74], -v[91:92], v[75:76], v[47:48]
	v_mul_f64 v[47:48], v[41:42], v[45:46]
	v_fma_f64 v[67:68], v[89:90], v[75:76], v[43:44]
	s_waitcnt vmcnt(0)
	v_fma_f64 v[43:44], v[91:92], v[13:14], v[79:80]
	v_fma_f64 v[71:72], -v[103:104], v[47:48], v[41:42]
	global_load_dwordx4 v[101:104], v[121:122], off
	v_fma_f64 v[41:42], v[89:90], v[13:14], v[77:78]
	v_fma_f64 v[43:44], v[89:90], v[15:16], v[43:44]
	v_fma_f64 v[67:68], v[51:52], v[17:18], v[67:68]
	v_fma_f64 v[41:42], -v[91:92], v[15:16], v[41:42]
	v_fma_f64 v[43:44], v[51:52], v[33:34], v[43:44]
	v_fma_f64 v[41:42], v[49:50], v[33:34], v[41:42]
	;; [unrolled: 1-line block ×3, first 2 shown]
	v_fma_f64 v[75:76], -v[51:52], v[35:36], v[41:42]
	v_mul_f64 v[41:42], v[107:108], -v[43:44]
	v_fma_f64 v[41:42], v[75:76], v[111:112], v[41:42]
	v_mul_f64 v[75:76], v[107:108], v[75:76]
	v_fma_f64 v[13:14], -v[41:42], v[89:90], v[13:14]
	v_fma_f64 v[43:44], v[43:44], v[111:112], v[75:76]
	v_div_fmas_f64 v[75:76], v[71:72], v[45:46], v[47:48]
	v_add_co_u32 v81, vcc_lo, s6, v81
	v_add_co_ci_u32_e64 v82, null, s7, v82, vcc_lo
	v_add_f64 v[77:78], v[77:78], -v[41:42]
	s_andn2_b32 vcc_lo, exec_lo, s27
	v_fma_f64 v[15:16], -v[43:44], v[89:90], v[15:16]
	v_add_f64 v[79:80], v[79:80], -v[43:44]
	s_waitcnt vmcnt(0)
	v_fma_f64 v[45:46], v[91:92], v[9:10], v[103:104]
	v_fma_f64 v[47:48], v[89:90], v[9:10], v[101:102]
	;; [unrolled: 1-line block ×3, first 2 shown]
	v_fma_f64 v[47:48], -v[91:92], v[11:12], v[47:48]
	v_fma_f64 v[45:46], v[51:52], v[29:30], v[45:46]
	v_fma_f64 v[47:48], v[49:50], v[29:30], v[47:48]
	;; [unrolled: 1-line block ×3, first 2 shown]
	v_fma_f64 v[47:48], -v[51:52], v[31:32], v[47:48]
	v_mul_f64 v[45:46], v[107:108], -v[71:72]
	v_fma_f64 v[45:46], v[47:48], v[111:112], v[45:46]
	v_mul_f64 v[47:48], v[107:108], v[47:48]
	v_fma_f64 v[9:10], -v[45:46], v[89:90], v[9:10]
	v_fma_f64 v[47:48], v[71:72], v[111:112], v[47:48]
	v_fma_f64 v[71:72], v[49:50], v[17:18], v[73:74]
	;; [unrolled: 1-line block ×3, first 2 shown]
	v_add_f64 v[101:102], v[101:102], -v[45:46]
	v_fma_f64 v[11:12], -v[47:48], v[89:90], v[11:12]
	v_fma_f64 v[67:68], -v[51:52], v[19:20], v[71:72]
	v_mul_f64 v[71:72], v[107:108], -v[73:74]
	v_fma_f64 v[9:10], v[47:48], v[91:92], v[9:10]
	v_add_f64 v[103:104], v[103:104], -v[47:48]
	v_fma_f64 v[11:12], -v[45:46], v[91:92], v[11:12]
	v_mul_f64 v[107:108], v[107:108], v[67:68]
	v_fma_f64 v[67:68], v[67:68], v[111:112], v[71:72]
	v_fma_f64 v[71:72], v[73:74], v[111:112], v[107:108]
	v_div_fixup_f64 v[73:74], v[75:76], v[109:110], 1.0
	v_mul_f64 v[75:76], v[115:116], 0
	v_mul_f64 v[107:108], v[115:116], -2.0
	v_add_f64 v[93:94], v[93:94], -v[67:68]
	v_add_f64 v[95:96], v[95:96], -v[71:72]
	v_fma_f64 v[75:76], v[105:106], 2.0, v[75:76]
	v_fma_f64 v[105:106], v[105:106], 0, v[107:108]
	v_mul_f64 v[109:110], v[75:76], v[73:74]
	v_mul_f64 v[73:74], v[105:106], v[73:74]
	global_load_dwordx4 v[105:108], v[81:82], off
	s_waitcnt vmcnt(0)
	v_fma_f64 v[75:76], v[91:92], v[21:22], v[107:108]
	v_fma_f64 v[111:112], v[89:90], v[21:22], v[105:106]
	;; [unrolled: 1-line block ×3, first 2 shown]
	v_fma_f64 v[111:112], -v[91:92], v[23:24], v[111:112]
	v_fma_f64 v[75:76], v[51:52], v[1:2], v[75:76]
	v_fma_f64 v[111:112], v[49:50], v[1:2], v[111:112]
	;; [unrolled: 1-line block ×3, first 2 shown]
	v_fma_f64 v[75:76], -v[51:52], v[3:4], v[111:112]
	v_mul_f64 v[111:112], v[73:74], -v[115:116]
	v_mul_f64 v[73:74], v[73:74], v[75:76]
	v_fma_f64 v[75:76], v[75:76], v[109:110], v[111:112]
	v_fma_f64 v[73:74], v[115:116], v[109:110], v[73:74]
	v_fma_f64 v[109:110], -v[37:38], v[89:90], v[5:6]
	v_fma_f64 v[111:112], -v[39:40], v[89:90], v[7:8]
	global_load_dwordx4 v[5:8], v[113:114], off
	v_fma_f64 v[21:22], -v[89:90], v[75:76], v[21:22]
	v_fma_f64 v[23:24], -v[91:92], v[75:76], v[23:24]
	v_add_f64 v[105:106], v[105:106], -v[75:76]
	v_add_f64 v[107:108], v[107:108], -v[73:74]
	v_fma_f64 v[21:22], v[91:92], v[73:74], v[21:22]
	v_fma_f64 v[23:24], -v[89:90], v[73:74], v[23:24]
	s_waitcnt vmcnt(0)
	v_fma_f64 v[115:116], -v[67:68], v[89:90], v[5:6]
	v_fma_f64 v[123:124], -v[71:72], v[89:90], v[7:8]
	v_fma_f64 v[5:6], v[43:44], v[91:92], v[13:14]
	v_fma_f64 v[7:8], -v[41:42], v[91:92], v[15:16]
	v_fma_f64 v[13:14], v[39:40], v[91:92], v[109:110]
	v_fma_f64 v[15:16], -v[37:38], v[91:92], v[111:112]
	global_store_dwordx4 v[69:70], v[97:100], off
	global_store_dwordx4 v[119:120], v[77:80], off
	global_store_dwordx4 v[121:122], v[101:104], off
	global_store_dwordx4 v[117:118], v[93:96], off
	global_store_dwordx4 v[55:56], v[5:8], off
	global_store_dwordx4 v[57:58], v[9:12], off
	global_store_dwordx4 v[61:62], v[13:16], off
	v_fma_f64 v[89:90], v[71:72], v[91:92], v[115:116]
	v_fma_f64 v[91:92], -v[67:68], v[91:92], v[123:124]
	global_store_dwordx4 v[81:82], v[105:108], off
	global_store_dwordx4 v[113:114], v[89:92], off
	;; [unrolled: 1-line block ×3, first 2 shown]
	s_cbranch_vccnz .LBB10_3
; %bb.18:                               ;   in Loop: Header=BB10_4 Depth=1
	v_fma_f64 v[5:6], -v[41:42], v[49:50], v[33:34]
	v_fma_f64 v[7:8], -v[43:44], v[49:50], v[35:36]
	;; [unrolled: 1-line block ×8, first 2 shown]
	v_ashrrev_i32_e32 v60, 31, v59
	v_fma_f64 v[23:24], -v[49:50], v[75:76], v[1:2]
	v_fma_f64 v[25:26], -v[51:52], v[75:76], v[3:4]
	v_ashrrev_i32_e32 v54, 31, v53
	v_lshlrev_b64 v[21:22], 4, v[59:60]
	v_lshlrev_b64 v[29:30], 4, v[53:54]
	v_add_co_u32 v1, vcc_lo, s20, v21
	v_add_co_ci_u32_e64 v2, null, s21, v22, vcc_lo
	v_fma_f64 v[3:4], -v[41:42], v[51:52], v[7:8]
	v_add_co_u32 v27, vcc_lo, s22, v21
	global_store_dwordx4 v[1:2], v[49:52], off
	v_fma_f64 v[1:2], v[43:44], v[51:52], v[5:6]
	v_fma_f64 v[5:6], v[47:48], v[51:52], v[9:10]
	v_fma_f64 v[7:8], -v[45:46], v[51:52], v[11:12]
	v_fma_f64 v[9:10], v[39:40], v[51:52], v[13:14]
	v_fma_f64 v[11:12], -v[37:38], v[51:52], v[15:16]
	;; [unrolled: 2-line block ×4, first 2 shown]
	v_add_co_ci_u32_e64 v28, null, s23, v22, vcc_lo
	v_add_co_u32 v23, vcc_lo, s16, v21
	v_add_co_ci_u32_e64 v24, null, s17, v22, vcc_lo
	v_add_co_u32 v25, vcc_lo, s18, v21
	;; [unrolled: 2-line block ×4, first 2 shown]
	v_add_co_ci_u32_e64 v30, null, s7, v30, vcc_lo
	global_store_dwordx4 v[27:28], v[1:4], off
	global_store_dwordx4 v[23:24], v[5:8], off
	;; [unrolled: 1-line block ×5, first 2 shown]
	s_branch .LBB10_3
.LBB10_19:
	s_cmp_lt_i32 s8, 1
	s_cbranch_scc1 .LBB10_32
; %bb.20:
	s_waitcnt vmcnt(0)
	v_mad_u64_u32 v[1:2], null, s9, s11, v[0:1]
	s_load_dwordx2 s[0:1], s[4:5], 0x38
	s_add_i32 s2, s8, 3
	v_mad_u64_u32 v[2:3], null, s10, s2, v[0:1]
	s_add_i32 s2, s8, 2
	v_mad_u64_u32 v[3:4], null, s10, s2, v[0:1]
	;; [unrolled: 2-line block ×3, first 2 shown]
	v_mad_u64_u32 v[5:6], null, s10, s8, v[0:1]
	v_mad_u64_u32 v[6:7], null, s10, s11, v[0:1]
	s_mov_b32 s2, s8
	s_branch .LBB10_22
.LBB10_21:                              ;   in Loop: Header=BB10_22 Depth=1
	v_lshlrev_b64 v[23:24], 4, v[7:8]
	v_subrev_nc_u32_e32 v1, s9, v1
	v_subrev_nc_u32_e32 v2, s10, v2
	;; [unrolled: 1-line block ×5, first 2 shown]
	s_waitcnt lgkmcnt(0)
	v_add_co_u32 v7, vcc_lo, s16, v23
	v_add_co_ci_u32_e64 v8, null, s17, v24, vcc_lo
	v_subrev_nc_u32_e32 v6, s10, v6
	s_add_i32 s2, s2, -1
	s_cmp_gt_i32 s2, 0
	global_load_dwordx4 v[15:18], v[7:8], off
	v_add_co_u32 v7, vcc_lo, s6, v13
	v_add_co_ci_u32_e64 v8, null, s7, v14, vcc_lo
	global_load_dwordx4 v[19:22], v[7:8], off
	s_waitcnt vmcnt(1)
	v_mul_f64 v[7:8], v[17:18], v[17:18]
	s_waitcnt vmcnt(0)
	v_add_f64 v[9:10], v[21:22], -v[9:10]
	v_add_f64 v[11:12], v[19:20], -v[11:12]
	v_fma_f64 v[7:8], v[15:16], v[15:16], v[7:8]
	v_mul_f64 v[19:20], v[9:10], v[17:18]
	v_mul_f64 v[17:18], v[17:18], -v[11:12]
	v_div_scale_f64 v[13:14], null, v[7:8], v[7:8], 1.0
	v_div_scale_f64 v[29:30], vcc_lo, 1.0, v[7:8], 1.0
	v_fma_f64 v[11:12], v[11:12], v[15:16], v[19:20]
	v_fma_f64 v[9:10], v[9:10], v[15:16], v[17:18]
	v_rcp_f64_e32 v[25:26], v[13:14]
	v_fma_f64 v[27:28], -v[13:14], v[25:26], 1.0
	v_fma_f64 v[25:26], v[25:26], v[27:28], v[25:26]
	v_fma_f64 v[27:28], -v[13:14], v[25:26], 1.0
	v_fma_f64 v[25:26], v[25:26], v[27:28], v[25:26]
	v_mul_f64 v[27:28], v[29:30], v[25:26]
	v_fma_f64 v[13:14], -v[13:14], v[27:28], v[29:30]
	v_div_fmas_f64 v[13:14], v[13:14], v[25:26], v[27:28]
	v_div_fixup_f64 v[13:14], v[13:14], v[7:8], 1.0
	v_mul_f64 v[7:8], v[11:12], v[13:14]
	v_mul_f64 v[9:10], v[9:10], v[13:14]
	v_add_co_u32 v11, vcc_lo, s0, v23
	v_add_co_ci_u32_e64 v12, null, s1, v24, vcc_lo
	global_store_dwordx4 v[11:12], v[7:10], off
	s_cbranch_scc0 .LBB10_32
.LBB10_22:                              ; =>This Inner Loop Header: Depth=1
	v_add_nc_u32_e32 v7, s3, v6
	v_mov_b32_e32 v9, 0
	v_mov_b32_e32 v11, 0
	;; [unrolled: 1-line block ×4, first 2 shown]
	v_ashrrev_i32_e32 v8, 31, v7
	s_cmp_ge_i32 s2, s8
	s_cbranch_scc1 .LBB10_24
; %bb.23:                               ;   in Loop: Header=BB10_22 Depth=1
	v_add_nc_u32_e32 v9, s3, v5
	v_lshlrev_b64 v[11:12], 4, v[7:8]
	v_ashrrev_i32_e32 v10, 31, v9
	s_waitcnt lgkmcnt(0)
	v_add_co_u32 v11, vcc_lo, s18, v11
	v_add_co_ci_u32_e64 v12, null, s19, v12, vcc_lo
	v_lshlrev_b64 v[9:10], 4, v[9:10]
	v_add_co_u32 v13, vcc_lo, s0, v9
	v_add_co_ci_u32_e64 v14, null, s1, v10, vcc_lo
	global_load_dwordx4 v[9:12], v[11:12], off
	global_load_dwordx4 v[13:16], v[13:14], off
	s_waitcnt vmcnt(0)
	v_mul_f64 v[17:18], v[15:16], -v[11:12]
	v_mul_f64 v[15:16], v[15:16], v[9:10]
	v_fma_f64 v[9:10], v[9:10], v[13:14], v[17:18]
	v_fma_f64 v[13:14], v[11:12], v[13:14], v[15:16]
	v_add_f64 v[11:12], v[9:10], 0
	v_add_f64 v[9:10], v[13:14], 0
.LBB10_24:                              ;   in Loop: Header=BB10_22 Depth=1
	s_add_i32 s4, s2, 1
	s_cmp_ge_i32 s4, s8
	s_cbranch_scc1 .LBB10_26
; %bb.25:                               ;   in Loop: Header=BB10_22 Depth=1
	v_add_nc_u32_e32 v13, s3, v4
	v_lshlrev_b64 v[15:16], 4, v[7:8]
	v_ashrrev_i32_e32 v14, 31, v13
	s_waitcnt lgkmcnt(0)
	v_add_co_u32 v15, vcc_lo, s24, v15
	v_add_co_ci_u32_e64 v16, null, s25, v16, vcc_lo
	v_lshlrev_b64 v[13:14], 4, v[13:14]
	v_add_co_u32 v17, vcc_lo, s0, v13
	v_add_co_ci_u32_e64 v18, null, s1, v14, vcc_lo
	global_load_dwordx4 v[13:16], v[15:16], off
	global_load_dwordx4 v[17:20], v[17:18], off
	s_waitcnt vmcnt(0)
	v_mul_f64 v[21:22], v[19:20], -v[15:16]
	v_mul_f64 v[19:20], v[19:20], v[13:14]
	v_fma_f64 v[13:14], v[13:14], v[17:18], v[21:22]
	v_fma_f64 v[15:16], v[15:16], v[17:18], v[19:20]
	v_add_f64 v[11:12], v[11:12], v[13:14]
	v_add_f64 v[9:10], v[9:10], v[15:16]
.LBB10_26:                              ;   in Loop: Header=BB10_22 Depth=1
	v_add_nc_u32_e32 v13, s3, v1
	s_add_i32 s4, s2, 2
	s_cmp_lt_i32 s4, s8
	s_mov_b32 s4, -1
	s_cbranch_scc0 .LBB10_29
; %bb.27:                               ;   in Loop: Header=BB10_22 Depth=1
	s_andn2_b32 vcc_lo, exec_lo, s4
	s_cbranch_vccz .LBB10_30
.LBB10_28:                              ;   in Loop: Header=BB10_22 Depth=1
	v_lshlrev_b64 v[13:14], 4, v[13:14]
	s_add_i32 s4, s2, 3
	s_cmp_ge_i32 s4, s8
	s_cbranch_scc1 .LBB10_21
	s_branch .LBB10_31
.LBB10_29:                              ;   in Loop: Header=BB10_22 Depth=1
	v_ashrrev_i32_e32 v14, 31, v13
	s_cbranch_execnz .LBB10_28
.LBB10_30:                              ;   in Loop: Header=BB10_22 Depth=1
	v_add_nc_u32_e32 v15, s3, v3
	v_ashrrev_i32_e32 v14, 31, v13
	v_ashrrev_i32_e32 v16, 31, v15
	v_lshlrev_b64 v[17:18], 4, v[13:14]
	v_lshlrev_b64 v[15:16], 4, v[15:16]
	s_waitcnt lgkmcnt(0)
	v_add_co_u32 v17, vcc_lo, s12, v17
	v_add_co_ci_u32_e64 v18, null, s13, v18, vcc_lo
	v_add_co_u32 v19, vcc_lo, s0, v15
	v_add_co_ci_u32_e64 v20, null, s1, v16, vcc_lo
	global_load_dwordx4 v[15:18], v[17:18], off
	global_load_dwordx4 v[19:22], v[19:20], off
	s_waitcnt vmcnt(0)
	v_mul_f64 v[23:24], v[21:22], -v[17:18]
	v_mul_f64 v[21:22], v[21:22], v[15:16]
	v_fma_f64 v[15:16], v[15:16], v[19:20], v[23:24]
	v_fma_f64 v[17:18], v[17:18], v[19:20], v[21:22]
	v_add_f64 v[11:12], v[11:12], v[15:16]
	v_add_f64 v[9:10], v[9:10], v[17:18]
	v_lshlrev_b64 v[13:14], 4, v[13:14]
	s_add_i32 s4, s2, 3
	s_cmp_ge_i32 s4, s8
	s_cbranch_scc1 .LBB10_21
.LBB10_31:                              ;   in Loop: Header=BB10_22 Depth=1
	v_add_nc_u32_e32 v15, s3, v2
	s_waitcnt lgkmcnt(0)
	v_add_co_u32 v17, vcc_lo, s14, v13
	v_add_co_ci_u32_e64 v18, null, s15, v14, vcc_lo
	v_ashrrev_i32_e32 v16, 31, v15
	v_lshlrev_b64 v[15:16], 4, v[15:16]
	v_add_co_u32 v19, vcc_lo, s0, v15
	v_add_co_ci_u32_e64 v20, null, s1, v16, vcc_lo
	global_load_dwordx4 v[15:18], v[17:18], off
	global_load_dwordx4 v[19:22], v[19:20], off
	s_waitcnt vmcnt(0)
	v_mul_f64 v[23:24], v[21:22], -v[17:18]
	v_mul_f64 v[21:22], v[21:22], v[15:16]
	v_fma_f64 v[15:16], v[15:16], v[19:20], v[23:24]
	v_fma_f64 v[17:18], v[17:18], v[19:20], v[21:22]
	v_add_f64 v[11:12], v[11:12], v[15:16]
	v_add_f64 v[9:10], v[9:10], v[17:18]
	s_branch .LBB10_21
.LBB10_32:
	s_endpgm
	.section	.rodata,"a",@progbits
	.p2align	6, 0x0
	.amdhsa_kernel _ZN9rocsparseL44gpsv_interleaved_batch_householder_qr_kernelILj256E21rocsparse_complex_numIdEEEviiiPT0_S4_S4_S4_S4_S4_S4_S4_S4_
		.amdhsa_group_segment_fixed_size 0
		.amdhsa_private_segment_fixed_size 0
		.amdhsa_kernarg_size 344
		.amdhsa_user_sgpr_count 6
		.amdhsa_user_sgpr_private_segment_buffer 1
		.amdhsa_user_sgpr_dispatch_ptr 0
		.amdhsa_user_sgpr_queue_ptr 0
		.amdhsa_user_sgpr_kernarg_segment_ptr 1
		.amdhsa_user_sgpr_dispatch_id 0
		.amdhsa_user_sgpr_flat_scratch_init 0
		.amdhsa_user_sgpr_private_segment_size 0
		.amdhsa_wavefront_size32 1
		.amdhsa_uses_dynamic_stack 0
		.amdhsa_system_sgpr_private_segment_wavefront_offset 0
		.amdhsa_system_sgpr_workgroup_id_x 1
		.amdhsa_system_sgpr_workgroup_id_y 0
		.amdhsa_system_sgpr_workgroup_id_z 0
		.amdhsa_system_sgpr_workgroup_info 0
		.amdhsa_system_vgpr_workitem_id 0
		.amdhsa_next_free_vgpr 125
		.amdhsa_next_free_sgpr 29
		.amdhsa_reserve_vcc 1
		.amdhsa_reserve_flat_scratch 0
		.amdhsa_float_round_mode_32 0
		.amdhsa_float_round_mode_16_64 0
		.amdhsa_float_denorm_mode_32 3
		.amdhsa_float_denorm_mode_16_64 3
		.amdhsa_dx10_clamp 1
		.amdhsa_ieee_mode 1
		.amdhsa_fp16_overflow 0
		.amdhsa_workgroup_processor_mode 1
		.amdhsa_memory_ordered 1
		.amdhsa_forward_progress 1
		.amdhsa_shared_vgpr_count 0
		.amdhsa_exception_fp_ieee_invalid_op 0
		.amdhsa_exception_fp_denorm_src 0
		.amdhsa_exception_fp_ieee_div_zero 0
		.amdhsa_exception_fp_ieee_overflow 0
		.amdhsa_exception_fp_ieee_underflow 0
		.amdhsa_exception_fp_ieee_inexact 0
		.amdhsa_exception_int_div_zero 0
	.end_amdhsa_kernel
	.section	.text._ZN9rocsparseL44gpsv_interleaved_batch_householder_qr_kernelILj256E21rocsparse_complex_numIdEEEviiiPT0_S4_S4_S4_S4_S4_S4_S4_S4_,"axG",@progbits,_ZN9rocsparseL44gpsv_interleaved_batch_householder_qr_kernelILj256E21rocsparse_complex_numIdEEEviiiPT0_S4_S4_S4_S4_S4_S4_S4_S4_,comdat
.Lfunc_end10:
	.size	_ZN9rocsparseL44gpsv_interleaved_batch_householder_qr_kernelILj256E21rocsparse_complex_numIdEEEviiiPT0_S4_S4_S4_S4_S4_S4_S4_S4_, .Lfunc_end10-_ZN9rocsparseL44gpsv_interleaved_batch_householder_qr_kernelILj256E21rocsparse_complex_numIdEEEviiiPT0_S4_S4_S4_S4_S4_S4_S4_S4_
                                        ; -- End function
	.set _ZN9rocsparseL44gpsv_interleaved_batch_householder_qr_kernelILj256E21rocsparse_complex_numIdEEEviiiPT0_S4_S4_S4_S4_S4_S4_S4_S4_.num_vgpr, 125
	.set _ZN9rocsparseL44gpsv_interleaved_batch_householder_qr_kernelILj256E21rocsparse_complex_numIdEEEviiiPT0_S4_S4_S4_S4_S4_S4_S4_S4_.num_agpr, 0
	.set _ZN9rocsparseL44gpsv_interleaved_batch_householder_qr_kernelILj256E21rocsparse_complex_numIdEEEviiiPT0_S4_S4_S4_S4_S4_S4_S4_S4_.numbered_sgpr, 29
	.set _ZN9rocsparseL44gpsv_interleaved_batch_householder_qr_kernelILj256E21rocsparse_complex_numIdEEEviiiPT0_S4_S4_S4_S4_S4_S4_S4_S4_.num_named_barrier, 0
	.set _ZN9rocsparseL44gpsv_interleaved_batch_householder_qr_kernelILj256E21rocsparse_complex_numIdEEEviiiPT0_S4_S4_S4_S4_S4_S4_S4_S4_.private_seg_size, 0
	.set _ZN9rocsparseL44gpsv_interleaved_batch_householder_qr_kernelILj256E21rocsparse_complex_numIdEEEviiiPT0_S4_S4_S4_S4_S4_S4_S4_S4_.uses_vcc, 1
	.set _ZN9rocsparseL44gpsv_interleaved_batch_householder_qr_kernelILj256E21rocsparse_complex_numIdEEEviiiPT0_S4_S4_S4_S4_S4_S4_S4_S4_.uses_flat_scratch, 0
	.set _ZN9rocsparseL44gpsv_interleaved_batch_householder_qr_kernelILj256E21rocsparse_complex_numIdEEEviiiPT0_S4_S4_S4_S4_S4_S4_S4_S4_.has_dyn_sized_stack, 0
	.set _ZN9rocsparseL44gpsv_interleaved_batch_householder_qr_kernelILj256E21rocsparse_complex_numIdEEEviiiPT0_S4_S4_S4_S4_S4_S4_S4_S4_.has_recursion, 0
	.set _ZN9rocsparseL44gpsv_interleaved_batch_householder_qr_kernelILj256E21rocsparse_complex_numIdEEEviiiPT0_S4_S4_S4_S4_S4_S4_S4_S4_.has_indirect_call, 0
	.section	.AMDGPU.csdata,"",@progbits
; Kernel info:
; codeLenInByte = 4928
; TotalNumSgprs: 31
; NumVgprs: 125
; ScratchSize: 0
; MemoryBound: 1
; FloatMode: 240
; IeeeMode: 1
; LDSByteSize: 0 bytes/workgroup (compile time only)
; SGPRBlocks: 0
; VGPRBlocks: 15
; NumSGPRsForWavesPerEU: 31
; NumVGPRsForWavesPerEU: 125
; Occupancy: 8
; WaveLimiterHint : 0
; COMPUTE_PGM_RSRC2:SCRATCH_EN: 0
; COMPUTE_PGM_RSRC2:USER_SGPR: 6
; COMPUTE_PGM_RSRC2:TRAP_HANDLER: 0
; COMPUTE_PGM_RSRC2:TGID_X_EN: 1
; COMPUTE_PGM_RSRC2:TGID_Y_EN: 0
; COMPUTE_PGM_RSRC2:TGID_Z_EN: 0
; COMPUTE_PGM_RSRC2:TIDIG_COMP_CNT: 0
	.section	.text._ZN9rocsparseL39gpsv_interleaved_batch_givens_qr_kernelILj128E21rocsparse_complex_numIdEEEviiiPT0_S4_S4_S4_S4_S4_S4_S4_,"axG",@progbits,_ZN9rocsparseL39gpsv_interleaved_batch_givens_qr_kernelILj128E21rocsparse_complex_numIdEEEviiiPT0_S4_S4_S4_S4_S4_S4_S4_,comdat
	.globl	_ZN9rocsparseL39gpsv_interleaved_batch_givens_qr_kernelILj128E21rocsparse_complex_numIdEEEviiiPT0_S4_S4_S4_S4_S4_S4_S4_ ; -- Begin function _ZN9rocsparseL39gpsv_interleaved_batch_givens_qr_kernelILj128E21rocsparse_complex_numIdEEEviiiPT0_S4_S4_S4_S4_S4_S4_S4_
	.p2align	8
	.type	_ZN9rocsparseL39gpsv_interleaved_batch_givens_qr_kernelILj128E21rocsparse_complex_numIdEEEviiiPT0_S4_S4_S4_S4_S4_S4_S4_,@function
_ZN9rocsparseL39gpsv_interleaved_batch_givens_qr_kernelILj128E21rocsparse_complex_numIdEEEviiiPT0_S4_S4_S4_S4_S4_S4_S4_: ; @_ZN9rocsparseL39gpsv_interleaved_batch_givens_qr_kernelILj128E21rocsparse_complex_numIdEEEviiiPT0_S4_S4_S4_S4_S4_S4_S4_
; %bb.0:
	s_load_dwordx4 s[0:3], s[4:5], 0x0
	s_waitcnt lgkmcnt(0)
	s_lshl_b32 s3, s6, 7
	s_mov_b32 s6, exec_lo
	v_or_b32_e32 v45, s3, v0
	v_cmpx_gt_i32_e64 s1, v45
	s_cbranch_execz .LBB11_25
; %bb.1:
	s_clause 0x2
	s_load_dwordx2 s[6:7], s[4:5], 0x48
	s_load_dwordx4 s[16:19], s[4:5], 0x38
	s_load_dwordx8 s[8:15], s[4:5], 0x18
	s_add_i32 s20, s0, -2
	s_cmp_lt_i32 s0, 3
	s_cbranch_scc1 .LBB11_16
; %bb.2:
	s_load_dwordx2 s[4:5], s[4:5], 0x10
	v_mov_b32_e32 v54, v45
	v_mov_b32_e32 v53, v45
	s_lshl_b32 s21, s2, 1
	s_mov_b32 s22, s20
	s_branch .LBB11_4
.LBB11_3:                               ;   in Loop: Header=BB11_4 Depth=1
	s_or_b32 exec_lo, exec_lo, s23
	v_cmp_gt_f64_e32 vcc_lo, 0x10000000, v[67:68]
	s_add_i32 s22, s22, -1
	s_cmp_eq_u32 s22, 0
	v_cndmask_b32_e64 v44, 0, 0x100, vcc_lo
	v_ldexp_f64 v[63:64], v[67:68], v44
	v_cndmask_b32_e64 v44, 0, 0xffffff80, vcc_lo
	v_rsq_f64_e32 v[65:66], v[63:64]
	v_cmp_class_f64_e64 vcc_lo, v[63:64], 0x260
	v_mul_f64 v[67:68], v[63:64], v[65:66]
	v_mul_f64 v[65:66], v[65:66], 0.5
	v_fma_f64 v[69:70], -v[65:66], v[67:68], 0.5
	v_fma_f64 v[67:68], v[67:68], v[69:70], v[67:68]
	v_fma_f64 v[65:66], v[65:66], v[69:70], v[65:66]
	v_fma_f64 v[71:72], -v[67:68], v[67:68], v[63:64]
	v_fma_f64 v[67:68], v[71:72], v[65:66], v[67:68]
	v_fma_f64 v[69:70], -v[67:68], v[67:68], v[63:64]
	v_fma_f64 v[65:66], v[69:70], v[65:66], v[67:68]
	v_ldexp_f64 v[65:66], v[65:66], v44
	v_cndmask_b32_e32 v64, v66, v64, vcc_lo
	v_cndmask_b32_e32 v63, v65, v63, vcc_lo
	v_fma_f64 v[65:66], v[63:64], v[63:64], 0
	v_div_scale_f64 v[67:68], null, v[65:66], v[65:66], 1.0
	v_rcp_f64_e32 v[69:70], v[67:68]
	v_fma_f64 v[71:72], -v[67:68], v[69:70], 1.0
	v_fma_f64 v[69:70], v[69:70], v[71:72], v[69:70]
	v_fma_f64 v[71:72], -v[67:68], v[69:70], 1.0
	v_fma_f64 v[69:70], v[69:70], v[71:72], v[69:70]
	v_div_scale_f64 v[71:72], vcc_lo, 1.0, v[65:66], 1.0
	v_mul_f64 v[73:74], v[71:72], v[69:70]
	v_fma_f64 v[67:68], -v[67:68], v[73:74], v[71:72]
	v_mul_f64 v[71:72], 0x80000000, v[19:20]
	v_div_fmas_f64 v[67:68], v[67:68], v[69:70], v[73:74]
	v_mul_f64 v[69:70], 0x80000000, v[29:30]
	v_mul_f64 v[73:74], 0x80000000, v[17:18]
	v_fma_f64 v[71:72], v[17:18], v[63:64], v[71:72]
	v_div_fixup_f64 v[65:66], v[67:68], v[65:66], 1.0
	v_mul_f64 v[67:68], 0x80000000, v[31:32]
	v_fma_f64 v[69:70], -v[31:32], v[63:64], v[69:70]
	v_mul_f64 v[71:72], v[71:72], v[65:66]
	v_fma_f64 v[67:68], v[29:30], v[63:64], v[67:68]
	v_fma_f64 v[63:64], -v[19:20], v[63:64], v[73:74]
	v_mul_f64 v[69:70], v[69:70], v[65:66]
	v_mul_f64 v[67:68], v[67:68], v[65:66]
	v_mul_f64 v[63:64], v[63:64], v[65:66]
	v_mul_f64 v[65:66], v[63:64], -v[19:20]
	v_fma_f64 v[65:66], v[17:18], v[71:72], v[65:66]
	v_mul_f64 v[17:18], v[17:18], v[63:64]
	v_fma_f64 v[19:20], v[19:20], v[71:72], v[17:18]
	v_fma_f64 v[17:18], v[29:30], v[67:68], v[65:66]
	v_fma_f64 v[19:20], v[31:32], v[67:68], v[19:20]
	v_fma_f64 v[17:18], -v[31:32], v[69:70], v[17:18]
	v_fma_f64 v[19:20], v[29:30], v[69:70], v[19:20]
	global_store_dwordx4 v[59:60], v[17:20], off
	v_mul_f64 v[17:18], v[15:16], v[69:70]
	v_mul_f64 v[19:20], v[13:14], -v[69:70]
	v_fma_f64 v[17:18], v[13:14], v[67:68], v[17:18]
	v_fma_f64 v[19:20], v[15:16], v[67:68], v[19:20]
	s_waitcnt vmcnt(1)
	v_fma_f64 v[17:18], -v[25:26], v[71:72], v[17:18]
	v_fma_f64 v[19:20], -v[27:28], v[71:72], v[19:20]
	v_fma_f64 v[17:18], v[27:28], -v[63:64], v[17:18]
	v_fma_f64 v[19:20], v[25:26], v[63:64], v[19:20]
	global_store_dwordx4 v[51:52], v[17:20], off
	v_mul_f64 v[17:18], v[63:64], -v[15:16]
	v_fma_f64 v[17:18], v[13:14], v[71:72], v[17:18]
	v_mul_f64 v[13:14], v[13:14], v[63:64]
	v_fma_f64 v[15:16], v[15:16], v[71:72], v[13:14]
	v_fma_f64 v[13:14], v[25:26], v[67:68], v[17:18]
	;; [unrolled: 1-line block ×3, first 2 shown]
	v_fma_f64 v[13:14], -v[27:28], v[69:70], v[13:14]
	v_fma_f64 v[15:16], v[25:26], v[69:70], v[15:16]
	global_store_dwordx4 v[57:58], v[13:16], off
	v_mul_f64 v[13:14], v[7:8], v[69:70]
	v_mul_f64 v[15:16], v[5:6], -v[69:70]
	v_fma_f64 v[13:14], v[5:6], v[67:68], v[13:14]
	v_fma_f64 v[15:16], v[7:8], v[67:68], v[15:16]
	v_fma_f64 v[13:14], -v[21:22], v[71:72], v[13:14]
	v_fma_f64 v[15:16], -v[23:24], v[71:72], v[15:16]
	v_fma_f64 v[13:14], v[23:24], -v[63:64], v[13:14]
	v_fma_f64 v[15:16], v[21:22], v[63:64], v[15:16]
	global_store_dwordx4 v[49:50], v[13:16], off
	v_mul_f64 v[13:14], v[63:64], -v[7:8]
	v_fma_f64 v[13:14], v[5:6], v[71:72], v[13:14]
	v_mul_f64 v[5:6], v[5:6], v[63:64]
	v_fma_f64 v[7:8], v[7:8], v[71:72], v[5:6]
	v_fma_f64 v[5:6], v[21:22], v[67:68], v[13:14]
	;; [unrolled: 1-line block ×3, first 2 shown]
	v_fma_f64 v[5:6], -v[23:24], v[69:70], v[5:6]
	v_fma_f64 v[7:8], v[21:22], v[69:70], v[7:8]
	global_store_dwordx4 v[55:56], v[5:8], off
	v_mul_f64 v[5:6], v[3:4], v[69:70]
	v_mul_f64 v[7:8], v[1:2], -v[69:70]
	v_fma_f64 v[5:6], v[1:2], v[67:68], v[5:6]
	v_fma_f64 v[7:8], v[3:4], v[67:68], v[7:8]
	s_waitcnt vmcnt(0)
	v_fma_f64 v[5:6], -v[33:34], v[71:72], v[5:6]
	v_fma_f64 v[7:8], -v[35:36], v[71:72], v[7:8]
	v_fma_f64 v[5:6], v[35:36], -v[63:64], v[5:6]
	v_fma_f64 v[7:8], v[33:34], v[63:64], v[7:8]
	global_store_dwordx4 v[47:48], v[5:8], off
	v_mul_f64 v[5:6], v[63:64], -v[3:4]
	v_fma_f64 v[5:6], v[1:2], v[71:72], v[5:6]
	v_mul_f64 v[1:2], v[1:2], v[63:64]
	v_fma_f64 v[3:4], v[3:4], v[71:72], v[1:2]
	v_fma_f64 v[1:2], v[33:34], v[67:68], v[5:6]
	v_add_co_u32 v5, vcc_lo, s18, v53
	v_add_co_ci_u32_e64 v6, null, s19, v54, vcc_lo
	v_add_co_u32 v13, vcc_lo, s6, v42
	v_add_co_ci_u32_e64 v14, null, s7, v43, vcc_lo
	v_mov_b32_e32 v54, v46
	v_mov_b32_e32 v53, v37
	v_fma_f64 v[3:4], v[35:36], v[67:68], v[3:4]
	v_fma_f64 v[1:2], -v[35:36], v[69:70], v[1:2]
	v_fma_f64 v[3:4], v[33:34], v[69:70], v[3:4]
	global_store_dwordx4 v[61:62], v[1:4], off
	v_mul_f64 v[1:2], v[11:12], v[69:70]
	v_mul_f64 v[3:4], v[9:10], -v[69:70]
	v_fma_f64 v[1:2], v[9:10], v[67:68], v[1:2]
	v_fma_f64 v[3:4], v[11:12], v[67:68], v[3:4]
	global_store_dwordx4 v[40:41], v[1:4], off
	v_mul_f64 v[1:2], v[63:64], -v[11:12]
	v_mul_f64 v[3:4], v[9:10], v[63:64]
	v_fma_f64 v[1:2], v[9:10], v[71:72], v[1:2]
	v_fma_f64 v[3:4], v[11:12], v[71:72], v[3:4]
	global_store_dwordx4 v[5:6], v[1:4], off
	s_clause 0x1
	global_load_dwordx4 v[1:4], v[13:14], off
	global_load_dwordx4 v[5:8], v[38:39], off
	s_waitcnt vmcnt(0)
	v_mul_f64 v[9:10], v[63:64], -v[7:8]
	v_mul_f64 v[11:12], v[63:64], v[5:6]
	v_fma_f64 v[9:10], v[5:6], v[71:72], v[9:10]
	v_fma_f64 v[11:12], v[7:8], v[71:72], v[11:12]
	;; [unrolled: 1-line block ×4, first 2 shown]
	v_fma_f64 v[9:10], -v[3:4], v[69:70], v[9:10]
	v_fma_f64 v[11:12], v[1:2], v[69:70], v[11:12]
	global_store_dwordx4 v[13:14], v[9:12], off
	v_mul_f64 v[9:10], v[69:70], v[7:8]
	v_fma_f64 v[9:10], v[5:6], v[67:68], v[9:10]
	v_mul_f64 v[5:6], v[5:6], -v[69:70]
	v_fma_f64 v[7:8], v[7:8], v[67:68], v[5:6]
	v_fma_f64 v[5:6], -v[1:2], v[71:72], v[9:10]
	v_fma_f64 v[5:6], v[3:4], -v[63:64], v[5:6]
	v_fma_f64 v[3:4], -v[3:4], v[71:72], v[7:8]
	v_fma_f64 v[7:8], v[1:2], v[63:64], v[3:4]
	global_store_dwordx4 v[38:39], v[5:8], off
	s_cbranch_scc1 .LBB11_16
.LBB11_4:                               ; =>This Inner Loop Header: Depth=1
	v_add_nc_u32_e32 v1, s21, v54
	v_add_nc_u32_e32 v46, s2, v54
	s_mov_b32 s23, exec_lo
                                        ; implicit-def: $vgpr17_vgpr18
	v_ashrrev_i32_e32 v2, 31, v1
	v_ashrrev_i32_e32 v47, 31, v46
	v_lshlrev_b64 v[55:56], 4, v[1:2]
	v_lshlrev_b64 v[57:58], 4, v[46:47]
	s_waitcnt lgkmcnt(0)
	v_add_co_u32 v1, vcc_lo, s4, v55
	v_add_co_ci_u32_e64 v2, null, s5, v56, vcc_lo
	v_add_co_u32 v61, vcc_lo, s8, v57
	v_add_co_ci_u32_e64 v62, null, s9, v58, vcc_lo
	global_load_dwordx4 v[1:4], v[1:2], off
	v_add_co_u32 v63, vcc_lo, s8, v55
	global_load_dwordx4 v[5:8], v[61:62], off
	v_add_co_ci_u32_e64 v64, null, s9, v56, vcc_lo
	v_add_co_u32 v51, vcc_lo, s10, v57
	v_add_co_ci_u32_e64 v52, null, s11, v58, vcc_lo
	v_add_co_u32 v65, vcc_lo, s10, v55
	;; [unrolled: 2-line block ×6, first 2 shown]
	v_add_co_ci_u32_e64 v60, null, s15, v56, vcc_lo
	global_load_dwordx4 v[41:44], v[63:64], off
	s_clause 0x1
	global_load_dwordx4 v[37:40], v[51:52], off
	global_load_dwordx4 v[33:36], v[65:66], off
	s_clause 0x1
	global_load_dwordx4 v[29:32], v[49:50], off
	;; [unrolled: 3-line block ×3, first 2 shown]
	global_load_dwordx4 v[21:24], v[59:60], off
	s_waitcnt vmcnt(8)
	v_mul_f64 v[13:14], v[1:2], -v[3:4]
	v_mul_f64 v[15:16], v[3:4], v[3:4]
	v_fma_f64 v[13:14], v[3:4], v[1:2], v[13:14]
	v_fma_f64 v[15:16], v[1:2], v[1:2], v[15:16]
	s_waitcnt vmcnt(7)
	v_fma_f64 v[13:14], v[7:8], v[5:6], v[13:14]
	v_fma_f64 v[15:16], v[5:6], v[5:6], v[15:16]
	v_fma_f64 v[19:20], v[5:6], -v[7:8], v[13:14]
	v_fma_f64 v[13:14], v[7:8], v[7:8], v[15:16]
	v_cmp_gt_f64_e32 vcc_lo, 0, v[19:20]
	v_xor_b32_e32 v15, 0x80000000, v20
	v_cndmask_b32_e32 v16, v20, v15, vcc_lo
	v_mov_b32_e32 v15, v19
	v_cmpx_ngt_f64_e32 v[13:14], v[15:16]
	s_xor_b32 s23, exec_lo, s23
	s_cbranch_execz .LBB11_8
; %bb.5:                                ;   in Loop: Header=BB11_4 Depth=1
	v_mov_b32_e32 v17, 0
	v_mov_b32_e32 v18, 0
	s_mov_b32 s24, exec_lo
	v_cmpx_neq_f64_e32 0, v[19:20]
	s_cbranch_execz .LBB11_7
; %bb.6:                                ;   in Loop: Header=BB11_4 Depth=1
	v_div_scale_f64 v[17:18], null, v[15:16], v[15:16], v[13:14]
	v_div_scale_f64 v[71:72], vcc_lo, v[13:14], v[15:16], v[13:14]
	v_rcp_f64_e32 v[19:20], v[17:18]
	v_fma_f64 v[69:70], -v[17:18], v[19:20], 1.0
	v_fma_f64 v[19:20], v[19:20], v[69:70], v[19:20]
	v_fma_f64 v[69:70], -v[17:18], v[19:20], 1.0
	v_fma_f64 v[19:20], v[19:20], v[69:70], v[19:20]
	v_mul_f64 v[69:70], v[71:72], v[19:20]
	v_fma_f64 v[17:18], -v[17:18], v[69:70], v[71:72]
	v_div_fmas_f64 v[17:18], v[17:18], v[19:20], v[69:70]
	v_div_fixup_f64 v[13:14], v[17:18], v[15:16], v[13:14]
	v_fma_f64 v[13:14], v[13:14], v[13:14], 1.0
	v_cmp_gt_f64_e32 vcc_lo, 0x10000000, v[13:14]
	v_cndmask_b32_e64 v17, 0, 0x100, vcc_lo
	v_ldexp_f64 v[13:14], v[13:14], v17
	v_rsq_f64_e32 v[17:18], v[13:14]
	v_mul_f64 v[19:20], v[13:14], v[17:18]
	v_mul_f64 v[17:18], v[17:18], 0.5
	v_fma_f64 v[69:70], -v[17:18], v[19:20], 0.5
	v_fma_f64 v[19:20], v[19:20], v[69:70], v[19:20]
	v_fma_f64 v[17:18], v[17:18], v[69:70], v[17:18]
	v_fma_f64 v[69:70], -v[19:20], v[19:20], v[13:14]
	v_fma_f64 v[19:20], v[69:70], v[17:18], v[19:20]
	v_fma_f64 v[69:70], -v[19:20], v[19:20], v[13:14]
	v_fma_f64 v[17:18], v[69:70], v[17:18], v[19:20]
	v_cndmask_b32_e64 v19, 0, 0xffffff80, vcc_lo
	v_cmp_class_f64_e64 vcc_lo, v[13:14], 0x260
	v_ldexp_f64 v[17:18], v[17:18], v19
	v_cndmask_b32_e32 v14, v18, v14, vcc_lo
	v_cndmask_b32_e32 v13, v17, v13, vcc_lo
	v_mul_f64 v[17:18], v[15:16], v[13:14]
.LBB11_7:                               ;   in Loop: Header=BB11_4 Depth=1
	s_or_b32 exec_lo, exec_lo, s24
                                        ; implicit-def: $vgpr13_vgpr14
                                        ; implicit-def: $vgpr15_vgpr16
.LBB11_8:                               ;   in Loop: Header=BB11_4 Depth=1
	s_andn2_saveexec_b32 s23, s23
	s_cbranch_execz .LBB11_10
; %bb.9:                                ;   in Loop: Header=BB11_4 Depth=1
	v_div_scale_f64 v[17:18], null, v[13:14], v[13:14], v[15:16]
	v_div_scale_f64 v[71:72], vcc_lo, v[15:16], v[13:14], v[15:16]
	v_rcp_f64_e32 v[19:20], v[17:18]
	v_fma_f64 v[69:70], -v[17:18], v[19:20], 1.0
	v_fma_f64 v[19:20], v[19:20], v[69:70], v[19:20]
	v_fma_f64 v[69:70], -v[17:18], v[19:20], 1.0
	v_fma_f64 v[19:20], v[19:20], v[69:70], v[19:20]
	v_mul_f64 v[69:70], v[71:72], v[19:20]
	v_fma_f64 v[17:18], -v[17:18], v[69:70], v[71:72]
	v_div_fmas_f64 v[17:18], v[17:18], v[19:20], v[69:70]
	v_div_fixup_f64 v[15:16], v[17:18], v[13:14], v[15:16]
	v_fma_f64 v[15:16], v[15:16], v[15:16], 1.0
	v_cmp_gt_f64_e32 vcc_lo, 0x10000000, v[15:16]
	v_cndmask_b32_e64 v17, 0, 0x100, vcc_lo
	v_ldexp_f64 v[15:16], v[15:16], v17
	v_rsq_f64_e32 v[17:18], v[15:16]
	v_mul_f64 v[19:20], v[15:16], v[17:18]
	v_mul_f64 v[17:18], v[17:18], 0.5
	v_fma_f64 v[69:70], -v[17:18], v[19:20], 0.5
	v_fma_f64 v[19:20], v[19:20], v[69:70], v[19:20]
	v_fma_f64 v[17:18], v[17:18], v[69:70], v[17:18]
	v_fma_f64 v[69:70], -v[19:20], v[19:20], v[15:16]
	v_fma_f64 v[19:20], v[69:70], v[17:18], v[19:20]
	v_fma_f64 v[69:70], -v[19:20], v[19:20], v[15:16]
	v_fma_f64 v[17:18], v[69:70], v[17:18], v[19:20]
	v_cndmask_b32_e64 v19, 0, 0xffffff80, vcc_lo
	v_cmp_class_f64_e64 vcc_lo, v[15:16], 0x260
	v_ldexp_f64 v[17:18], v[17:18], v19
	v_cndmask_b32_e32 v16, v18, v16, vcc_lo
	v_cndmask_b32_e32 v15, v17, v15, vcc_lo
	v_mul_f64 v[17:18], v[13:14], v[15:16]
.LBB11_10:                              ;   in Loop: Header=BB11_4 Depth=1
	s_or_b32 exec_lo, exec_lo, s23
	v_cmp_gt_f64_e32 vcc_lo, 0x10000000, v[17:18]
	s_mov_b32 s23, exec_lo
	v_cndmask_b32_e64 v13, 0, 0x100, vcc_lo
	v_ldexp_f64 v[13:14], v[17:18], v13
	v_rsq_f64_e32 v[15:16], v[13:14]
	v_mul_f64 v[17:18], v[13:14], v[15:16]
	v_mul_f64 v[15:16], v[15:16], 0.5
	v_fma_f64 v[19:20], -v[15:16], v[17:18], 0.5
	v_fma_f64 v[17:18], v[17:18], v[19:20], v[17:18]
	v_fma_f64 v[15:16], v[15:16], v[19:20], v[15:16]
	v_fma_f64 v[69:70], -v[17:18], v[17:18], v[13:14]
	v_fma_f64 v[17:18], v[69:70], v[15:16], v[17:18]
	v_fma_f64 v[19:20], -v[17:18], v[17:18], v[13:14]
	v_fma_f64 v[15:16], v[19:20], v[15:16], v[17:18]
	v_cndmask_b32_e64 v17, 0, 0xffffff80, vcc_lo
	v_cmp_class_f64_e64 vcc_lo, v[13:14], 0x260
	v_ldexp_f64 v[15:16], v[15:16], v17
	v_cndmask_b32_e32 v14, v16, v14, vcc_lo
	v_cndmask_b32_e32 v13, v15, v13, vcc_lo
	v_fma_f64 v[15:16], v[13:14], v[13:14], 0
	v_div_scale_f64 v[17:18], null, v[15:16], v[15:16], 1.0
	v_rcp_f64_e32 v[19:20], v[17:18]
	v_fma_f64 v[69:70], -v[17:18], v[19:20], 1.0
	v_fma_f64 v[19:20], v[19:20], v[69:70], v[19:20]
	v_fma_f64 v[69:70], -v[17:18], v[19:20], 1.0
	v_fma_f64 v[19:20], v[19:20], v[69:70], v[19:20]
	v_div_scale_f64 v[69:70], vcc_lo, 1.0, v[15:16], 1.0
	v_mul_f64 v[71:72], v[69:70], v[19:20]
	v_fma_f64 v[17:18], -v[17:18], v[71:72], v[69:70]
	v_div_fmas_f64 v[17:18], v[17:18], v[19:20], v[71:72]
	v_div_fixup_f64 v[15:16], v[17:18], v[15:16], 1.0
	v_mul_f64 v[17:18], 0x80000000, v[7:8]
	v_fma_f64 v[17:18], v[5:6], v[13:14], v[17:18]
	v_mul_f64 v[69:70], v[17:18], v[15:16]
	v_mul_f64 v[17:18], 0x80000000, v[5:6]
	v_fma_f64 v[17:18], -v[7:8], v[13:14], v[17:18]
	v_mul_f64 v[71:72], v[17:18], v[15:16]
	v_mul_f64 v[17:18], 0x80000000, v[3:4]
	v_fma_f64 v[17:18], v[1:2], v[13:14], v[17:18]
	v_mul_f64 v[73:74], v[17:18], v[15:16]
	v_mul_f64 v[17:18], 0x80000000, v[1:2]
	v_fma_f64 v[13:14], -v[3:4], v[13:14], v[17:18]
	v_mul_f64 v[75:76], v[13:14], v[15:16]
	v_mul_f64 v[13:14], v[75:76], -v[3:4]
	v_fma_f64 v[13:14], v[1:2], v[73:74], v[13:14]
	v_mul_f64 v[1:2], v[1:2], v[75:76]
	v_fma_f64 v[1:2], v[3:4], v[73:74], v[1:2]
	v_fma_f64 v[3:4], v[5:6], v[69:70], v[13:14]
	v_fma_f64 v[1:2], v[7:8], v[69:70], v[1:2]
	v_fma_f64 v[17:18], -v[7:8], v[71:72], v[3:4]
	s_waitcnt vmcnt(6)
	v_mul_f64 v[3:4], v[41:42], v[75:76]
	v_fma_f64 v[19:20], v[5:6], v[71:72], v[1:2]
	v_mul_f64 v[1:2], v[75:76], -v[43:44]
	v_fma_f64 v[3:4], v[43:44], v[73:74], v[3:4]
	global_store_dwordx4 v[61:62], v[17:20], off
	v_mul_f64 v[61:62], v[43:44], v[71:72]
	v_fma_f64 v[1:2], v[41:42], v[73:74], v[1:2]
	v_fma_f64 v[61:62], v[41:42], v[69:70], v[61:62]
	v_mul_f64 v[41:42], v[41:42], -v[71:72]
	s_waitcnt vmcnt(5)
	v_fma_f64 v[1:2], v[37:38], v[69:70], v[1:2]
	v_fma_f64 v[43:44], v[43:44], v[69:70], v[41:42]
	v_fma_f64 v[41:42], -v[37:38], v[73:74], v[61:62]
	v_fma_f64 v[13:14], -v[39:40], v[71:72], v[1:2]
	v_fma_f64 v[1:2], v[39:40], v[69:70], v[3:4]
	s_waitcnt vmcnt(4)
	v_mul_f64 v[3:4], v[33:34], v[75:76]
	v_fma_f64 v[41:42], v[39:40], -v[75:76], v[41:42]
	v_fma_f64 v[39:40], -v[39:40], v[73:74], v[43:44]
	v_fma_f64 v[15:16], v[37:38], v[71:72], v[1:2]
	v_mul_f64 v[1:2], v[75:76], -v[35:36]
	v_fma_f64 v[3:4], v[35:36], v[73:74], v[3:4]
	v_fma_f64 v[43:44], v[37:38], v[75:76], v[39:40]
	v_mul_f64 v[37:38], v[35:36], v[71:72]
	v_fma_f64 v[1:2], v[33:34], v[73:74], v[1:2]
	global_store_dwordx4 v[63:64], v[41:44], off
	global_store_dwordx4 v[51:52], v[13:16], off
	v_fma_f64 v[37:38], v[33:34], v[69:70], v[37:38]
	v_mul_f64 v[33:34], v[33:34], -v[71:72]
	s_waitcnt vmcnt(3)
	v_fma_f64 v[1:2], v[29:30], v[69:70], v[1:2]
	v_mul_f64 v[63:64], v[19:20], v[19:20]
	v_fma_f64 v[35:36], v[35:36], v[69:70], v[33:34]
	v_fma_f64 v[33:34], -v[29:30], v[73:74], v[37:38]
	v_fma_f64 v[5:6], -v[31:32], v[71:72], v[1:2]
	v_fma_f64 v[1:2], v[31:32], v[69:70], v[3:4]
	s_waitcnt vmcnt(2)
	v_mul_f64 v[3:4], v[25:26], v[75:76]
	v_add_nc_u32_e32 v37, s1, v53
	v_fma_f64 v[63:64], v[17:18], v[17:18], v[63:64]
	v_ashrrev_i32_e32 v38, 31, v37
	v_fma_f64 v[33:34], v[31:32], -v[75:76], v[33:34]
	v_fma_f64 v[31:32], -v[31:32], v[73:74], v[35:36]
	v_fma_f64 v[7:8], v[29:30], v[71:72], v[1:2]
	v_mul_f64 v[1:2], v[75:76], -v[27:28]
	v_fma_f64 v[3:4], v[27:28], v[73:74], v[3:4]
	v_fma_f64 v[35:36], v[29:30], v[75:76], v[31:32]
	v_mul_f64 v[29:30], v[27:28], v[71:72]
	v_fma_f64 v[1:2], v[25:26], v[73:74], v[1:2]
	s_waitcnt vmcnt(1)
	v_fma_f64 v[3:4], v[11:12], v[69:70], v[3:4]
	global_store_dwordx4 v[65:66], v[33:36], off
	global_store_dwordx4 v[49:50], v[5:8], off
	v_fma_f64 v[29:30], v[25:26], v[69:70], v[29:30]
	v_mul_f64 v[25:26], v[25:26], -v[71:72]
	v_fma_f64 v[1:2], v[9:10], v[69:70], v[1:2]
	v_fma_f64 v[3:4], v[9:10], v[71:72], v[3:4]
	v_mul_f64 v[65:66], v[17:18], -v[19:20]
	v_fma_f64 v[27:28], v[27:28], v[69:70], v[25:26]
	v_fma_f64 v[25:26], -v[9:10], v[73:74], v[29:30]
	v_fma_f64 v[1:2], -v[11:12], v[71:72], v[1:2]
	v_fma_f64 v[65:66], v[19:20], v[17:18], v[65:66]
	v_fma_f64 v[25:26], v[11:12], -v[75:76], v[25:26]
	v_fma_f64 v[11:12], -v[11:12], v[73:74], v[27:28]
	v_fma_f64 v[27:28], v[9:10], v[75:76], v[11:12]
	s_waitcnt vmcnt(0)
	v_mul_f64 v[9:10], v[23:24], v[71:72]
	v_mul_f64 v[11:12], v[21:22], -v[71:72]
	global_store_dwordx4 v[67:68], v[25:28], off
	global_store_dwordx4 v[47:48], v[1:4], off
	v_fma_f64 v[9:10], v[21:22], v[69:70], v[9:10]
	v_fma_f64 v[11:12], v[23:24], v[69:70], v[11:12]
                                        ; implicit-def: $vgpr67_vgpr68
	global_store_dwordx4 v[59:60], v[9:12], off
	v_mul_f64 v[9:10], v[75:76], -v[23:24]
	v_mul_f64 v[11:12], v[21:22], v[75:76]
	v_fma_f64 v[9:10], v[21:22], v[73:74], v[9:10]
	v_lshlrev_b64 v[21:22], 4, v[37:38]
	v_fma_f64 v[11:12], v[23:24], v[73:74], v[11:12]
	v_add_co_u32 v40, vcc_lo, s16, v21
	v_add_co_ci_u32_e64 v41, null, s17, v22, vcc_lo
	v_add_co_u32 v38, vcc_lo, s6, v57
	v_add_co_ci_u32_e64 v39, null, s7, v58, vcc_lo
	v_add_co_u32 v33, vcc_lo, s6, v55
	v_add_co_ci_u32_e64 v34, null, s7, v56, vcc_lo
	global_load_dwordx4 v[21:24], v[38:39], off
	v_ashrrev_i32_e32 v55, 31, v54
	global_load_dwordx4 v[25:28], v[33:34], off
	global_store_dwordx4 v[40:41], v[9:12], off
	v_lshlrev_b64 v[42:43], 4, v[54:55]
	v_ashrrev_i32_e32 v54, 31, v53
	v_add_co_u32 v59, vcc_lo, s10, v42
	v_add_co_ci_u32_e64 v60, null, s11, v43, vcc_lo
	v_lshlrev_b64 v[53:54], 4, v[53:54]
	v_add_co_u32 v57, vcc_lo, s12, v42
	v_add_co_ci_u32_e64 v58, null, s13, v43, vcc_lo
	v_add_co_u32 v55, vcc_lo, s14, v42
	v_add_co_ci_u32_e64 v56, null, s15, v43, vcc_lo
	;; [unrolled: 2-line block ×3, first 2 shown]
	s_waitcnt vmcnt(0)
	v_mul_f64 v[29:30], v[75:76], -v[27:28]
	v_mul_f64 v[31:32], v[75:76], v[25:26]
	v_fma_f64 v[29:30], v[25:26], v[73:74], v[29:30]
	v_fma_f64 v[31:32], v[27:28], v[73:74], v[31:32]
	;; [unrolled: 1-line block ×4, first 2 shown]
	v_fma_f64 v[29:30], -v[23:24], v[71:72], v[29:30]
	v_fma_f64 v[31:32], v[21:22], v[71:72], v[31:32]
	global_store_dwordx4 v[38:39], v[29:32], off
	v_mul_f64 v[29:30], v[71:72], v[27:28]
	v_fma_f64 v[29:30], v[25:26], v[69:70], v[29:30]
	v_mul_f64 v[25:26], v[25:26], -v[71:72]
	v_fma_f64 v[27:28], v[27:28], v[69:70], v[25:26]
	v_fma_f64 v[25:26], -v[21:22], v[73:74], v[29:30]
	global_load_dwordx4 v[29:32], v[59:60], off
	v_fma_f64 v[25:26], v[23:24], -v[75:76], v[25:26]
	v_fma_f64 v[23:24], -v[23:24], v[73:74], v[27:28]
	v_fma_f64 v[27:28], v[21:22], v[75:76], v[23:24]
	global_load_dwordx4 v[21:24], v[55:56], off
	global_store_dwordx4 v[33:34], v[25:28], off
	global_load_dwordx4 v[25:28], v[57:58], off
	global_load_dwordx4 v[33:36], v[61:62], off
	s_waitcnt vmcnt(3)
	v_fma_f64 v[65:66], v[31:32], v[29:30], v[65:66]
	v_fma_f64 v[63:64], v[29:30], v[29:30], v[63:64]
	v_fma_f64 v[69:70], v[29:30], -v[31:32], v[65:66]
	v_fma_f64 v[63:64], v[31:32], v[31:32], v[63:64]
	v_cmp_gt_f64_e32 vcc_lo, 0, v[69:70]
	v_xor_b32_e32 v44, 0x80000000, v70
	v_mov_b32_e32 v65, v69
	v_cndmask_b32_e32 v66, v70, v44, vcc_lo
	v_cmpx_ngt_f64_e32 v[63:64], v[65:66]
	s_xor_b32 s23, exec_lo, s23
	s_cbranch_execz .LBB11_14
; %bb.11:                               ;   in Loop: Header=BB11_4 Depth=1
	v_mov_b32_e32 v67, 0
	v_mov_b32_e32 v68, 0
	s_mov_b32 s24, exec_lo
	v_cmpx_neq_f64_e32 0, v[69:70]
	s_cbranch_execz .LBB11_13
; %bb.12:                               ;   in Loop: Header=BB11_4 Depth=1
	v_div_scale_f64 v[67:68], null, v[65:66], v[65:66], v[63:64]
	v_div_scale_f64 v[73:74], vcc_lo, v[63:64], v[65:66], v[63:64]
	v_rcp_f64_e32 v[69:70], v[67:68]
	v_fma_f64 v[71:72], -v[67:68], v[69:70], 1.0
	v_fma_f64 v[69:70], v[69:70], v[71:72], v[69:70]
	v_fma_f64 v[71:72], -v[67:68], v[69:70], 1.0
	v_fma_f64 v[69:70], v[69:70], v[71:72], v[69:70]
	v_mul_f64 v[71:72], v[73:74], v[69:70]
	v_fma_f64 v[67:68], -v[67:68], v[71:72], v[73:74]
	v_div_fmas_f64 v[67:68], v[67:68], v[69:70], v[71:72]
	v_div_fixup_f64 v[63:64], v[67:68], v[65:66], v[63:64]
	v_fma_f64 v[63:64], v[63:64], v[63:64], 1.0
	v_cmp_gt_f64_e32 vcc_lo, 0x10000000, v[63:64]
	v_cndmask_b32_e64 v44, 0, 0x100, vcc_lo
	v_ldexp_f64 v[63:64], v[63:64], v44
	v_cndmask_b32_e64 v44, 0, 0xffffff80, vcc_lo
	v_rsq_f64_e32 v[67:68], v[63:64]
	v_cmp_class_f64_e64 vcc_lo, v[63:64], 0x260
	v_mul_f64 v[69:70], v[63:64], v[67:68]
	v_mul_f64 v[67:68], v[67:68], 0.5
	v_fma_f64 v[71:72], -v[67:68], v[69:70], 0.5
	v_fma_f64 v[69:70], v[69:70], v[71:72], v[69:70]
	v_fma_f64 v[67:68], v[67:68], v[71:72], v[67:68]
	v_fma_f64 v[71:72], -v[69:70], v[69:70], v[63:64]
	v_fma_f64 v[69:70], v[71:72], v[67:68], v[69:70]
	v_fma_f64 v[71:72], -v[69:70], v[69:70], v[63:64]
	v_fma_f64 v[67:68], v[71:72], v[67:68], v[69:70]
	v_ldexp_f64 v[67:68], v[67:68], v44
	v_cndmask_b32_e32 v64, v68, v64, vcc_lo
	v_cndmask_b32_e32 v63, v67, v63, vcc_lo
	v_mul_f64 v[67:68], v[65:66], v[63:64]
.LBB11_13:                              ;   in Loop: Header=BB11_4 Depth=1
	s_or_b32 exec_lo, exec_lo, s24
                                        ; implicit-def: $vgpr63_vgpr64
                                        ; implicit-def: $vgpr65_vgpr66
.LBB11_14:                              ;   in Loop: Header=BB11_4 Depth=1
	s_andn2_saveexec_b32 s23, s23
	s_cbranch_execz .LBB11_3
; %bb.15:                               ;   in Loop: Header=BB11_4 Depth=1
	v_div_scale_f64 v[67:68], null, v[63:64], v[63:64], v[65:66]
	v_div_scale_f64 v[73:74], vcc_lo, v[65:66], v[63:64], v[65:66]
	v_rcp_f64_e32 v[69:70], v[67:68]
	v_fma_f64 v[71:72], -v[67:68], v[69:70], 1.0
	v_fma_f64 v[69:70], v[69:70], v[71:72], v[69:70]
	v_fma_f64 v[71:72], -v[67:68], v[69:70], 1.0
	v_fma_f64 v[69:70], v[69:70], v[71:72], v[69:70]
	v_mul_f64 v[71:72], v[73:74], v[69:70]
	v_fma_f64 v[67:68], -v[67:68], v[71:72], v[73:74]
	v_div_fmas_f64 v[67:68], v[67:68], v[69:70], v[71:72]
	v_div_fixup_f64 v[65:66], v[67:68], v[63:64], v[65:66]
	v_fma_f64 v[65:66], v[65:66], v[65:66], 1.0
	v_cmp_gt_f64_e32 vcc_lo, 0x10000000, v[65:66]
	v_cndmask_b32_e64 v44, 0, 0x100, vcc_lo
	v_ldexp_f64 v[65:66], v[65:66], v44
	v_cndmask_b32_e64 v44, 0, 0xffffff80, vcc_lo
	v_rsq_f64_e32 v[67:68], v[65:66]
	v_cmp_class_f64_e64 vcc_lo, v[65:66], 0x260
	v_mul_f64 v[69:70], v[65:66], v[67:68]
	v_mul_f64 v[67:68], v[67:68], 0.5
	v_fma_f64 v[71:72], -v[67:68], v[69:70], 0.5
	v_fma_f64 v[69:70], v[69:70], v[71:72], v[69:70]
	v_fma_f64 v[67:68], v[67:68], v[71:72], v[67:68]
	v_fma_f64 v[71:72], -v[69:70], v[69:70], v[65:66]
	v_fma_f64 v[69:70], v[71:72], v[67:68], v[69:70]
	v_fma_f64 v[71:72], -v[69:70], v[69:70], v[65:66]
	v_fma_f64 v[67:68], v[71:72], v[67:68], v[69:70]
	v_ldexp_f64 v[67:68], v[67:68], v44
	v_cndmask_b32_e32 v66, v68, v66, vcc_lo
	v_cndmask_b32_e32 v65, v67, v65, vcc_lo
	v_mul_f64 v[67:68], v[63:64], v[65:66]
	s_branch .LBB11_3
.LBB11_16:
	s_add_i32 s4, s0, -1
                                        ; implicit-def: $vgpr54_vgpr55
	s_mul_i32 s4, s2, s4
	v_add_nc_u32_e32 v1, s4, v45
	s_sub_i32 s5, s4, s2
	v_ashrrev_i32_e32 v2, 31, v1
	v_lshlrev_b64 v[64:65], 4, v[1:2]
	s_waitcnt lgkmcnt(0)
	v_add_co_u32 v1, vcc_lo, s8, v64
	v_add_co_ci_u32_e64 v2, null, s9, v65, vcc_lo
	s_mov_b32 s8, exec_lo
	global_load_dwordx4 v[29:32], v[1:2], off
	v_add_nc_u32_e32 v1, s5, v45
	v_ashrrev_i32_e32 v2, 31, v1
	v_lshlrev_b64 v[62:63], 4, v[1:2]
	v_mad_u64_u32 v[1:2], null, s1, s20, v[45:46]
	v_add_co_u32 v58, vcc_lo, s10, v62
	v_add_co_ci_u32_e64 v59, null, s11, v63, vcc_lo
	v_ashrrev_i32_e32 v2, 31, v1
	v_add_nc_u32_e32 v41, s1, v1
	global_load_dwordx4 v[21:24], v[58:59], off
	v_lshlrev_b64 v[37:38], 4, v[1:2]
	v_ashrrev_i32_e32 v42, 31, v41
	v_lshlrev_b64 v[1:2], 4, v[41:42]
	v_add_co_u32 v39, vcc_lo, s16, v37
	v_add_co_ci_u32_e64 v40, null, s17, v38, vcc_lo
	v_add_co_u32 v66, vcc_lo, s10, v64
	v_add_co_ci_u32_e64 v67, null, s11, v65, vcc_lo
	v_add_co_u32 v68, vcc_lo, s12, v64
	v_add_co_ci_u32_e64 v69, null, s13, v65, vcc_lo
	v_add_co_u32 v46, vcc_lo, s14, v64
	v_add_co_ci_u32_e64 v47, null, s15, v65, vcc_lo
	v_add_co_u32 v60, vcc_lo, s12, v62
	v_add_co_ci_u32_e64 v61, null, s13, v63, vcc_lo
	v_add_co_u32 v48, vcc_lo, s14, v62
	v_add_co_ci_u32_e64 v49, null, s15, v63, vcc_lo
	v_add_co_u32 v42, vcc_lo, s16, v1
	v_add_co_ci_u32_e64 v43, null, s17, v2, vcc_lo
	global_load_dwordx4 v[33:36], v[66:67], off
	s_clause 0x1
	global_load_dwordx4 v[25:28], v[60:61], off
	global_load_dwordx4 v[17:20], v[68:69], off
	s_clause 0x1
	global_load_dwordx4 v[13:16], v[48:49], off
	;; [unrolled: 3-line block ×3, first 2 shown]
	global_load_dwordx4 v[1:4], v[42:43], off
	s_waitcnt vmcnt(8)
	v_mul_f64 v[50:51], v[29:30], -v[31:32]
	v_mul_f64 v[52:53], v[31:32], v[31:32]
	v_fma_f64 v[50:51], v[31:32], v[29:30], v[50:51]
	v_fma_f64 v[52:53], v[29:30], v[29:30], v[52:53]
	s_waitcnt vmcnt(7)
	v_fma_f64 v[50:51], v[23:24], v[21:22], v[50:51]
	v_fma_f64 v[52:53], v[21:22], v[21:22], v[52:53]
	v_fma_f64 v[56:57], v[21:22], -v[23:24], v[50:51]
	v_fma_f64 v[50:51], v[23:24], v[23:24], v[52:53]
	v_cmp_gt_f64_e32 vcc_lo, 0, v[56:57]
	v_xor_b32_e32 v44, 0x80000000, v57
	v_mov_b32_e32 v52, v56
	v_cndmask_b32_e32 v53, v57, v44, vcc_lo
	v_cmpx_ngt_f64_e32 v[50:51], v[52:53]
	s_xor_b32 s8, exec_lo, s8
	s_cbranch_execz .LBB11_20
; %bb.17:
	v_mov_b32_e32 v54, 0
	v_mov_b32_e32 v55, 0
	s_mov_b32 s9, exec_lo
	v_cmpx_neq_f64_e32 0, v[56:57]
	s_cbranch_execz .LBB11_19
; %bb.18:
	v_div_scale_f64 v[54:55], null, v[52:53], v[52:53], v[50:51]
	v_div_scale_f64 v[72:73], vcc_lo, v[50:51], v[52:53], v[50:51]
	v_rcp_f64_e32 v[56:57], v[54:55]
	v_fma_f64 v[70:71], -v[54:55], v[56:57], 1.0
	v_fma_f64 v[56:57], v[56:57], v[70:71], v[56:57]
	v_fma_f64 v[70:71], -v[54:55], v[56:57], 1.0
	v_fma_f64 v[56:57], v[56:57], v[70:71], v[56:57]
	v_mul_f64 v[70:71], v[72:73], v[56:57]
	v_fma_f64 v[54:55], -v[54:55], v[70:71], v[72:73]
	v_div_fmas_f64 v[54:55], v[54:55], v[56:57], v[70:71]
	v_div_fixup_f64 v[50:51], v[54:55], v[52:53], v[50:51]
	v_fma_f64 v[50:51], v[50:51], v[50:51], 1.0
	v_cmp_gt_f64_e32 vcc_lo, 0x10000000, v[50:51]
	v_cndmask_b32_e64 v44, 0, 0x100, vcc_lo
	v_ldexp_f64 v[50:51], v[50:51], v44
	v_cndmask_b32_e64 v44, 0, 0xffffff80, vcc_lo
	v_rsq_f64_e32 v[54:55], v[50:51]
	v_cmp_class_f64_e64 vcc_lo, v[50:51], 0x260
	v_mul_f64 v[56:57], v[50:51], v[54:55]
	v_mul_f64 v[54:55], v[54:55], 0.5
	v_fma_f64 v[70:71], -v[54:55], v[56:57], 0.5
	v_fma_f64 v[56:57], v[56:57], v[70:71], v[56:57]
	v_fma_f64 v[54:55], v[54:55], v[70:71], v[54:55]
	v_fma_f64 v[70:71], -v[56:57], v[56:57], v[50:51]
	v_fma_f64 v[56:57], v[70:71], v[54:55], v[56:57]
	v_fma_f64 v[70:71], -v[56:57], v[56:57], v[50:51]
	v_fma_f64 v[54:55], v[70:71], v[54:55], v[56:57]
	v_ldexp_f64 v[54:55], v[54:55], v44
	v_cndmask_b32_e32 v51, v55, v51, vcc_lo
	v_cndmask_b32_e32 v50, v54, v50, vcc_lo
	v_mul_f64 v[54:55], v[52:53], v[50:51]
.LBB11_19:
	s_or_b32 exec_lo, exec_lo, s9
                                        ; implicit-def: $vgpr50_vgpr51
                                        ; implicit-def: $vgpr52_vgpr53
.LBB11_20:
	s_andn2_saveexec_b32 s8, s8
	s_cbranch_execz .LBB11_22
; %bb.21:
	v_div_scale_f64 v[54:55], null, v[50:51], v[50:51], v[52:53]
	v_div_scale_f64 v[72:73], vcc_lo, v[52:53], v[50:51], v[52:53]
	v_rcp_f64_e32 v[56:57], v[54:55]
	v_fma_f64 v[70:71], -v[54:55], v[56:57], 1.0
	v_fma_f64 v[56:57], v[56:57], v[70:71], v[56:57]
	v_fma_f64 v[70:71], -v[54:55], v[56:57], 1.0
	v_fma_f64 v[56:57], v[56:57], v[70:71], v[56:57]
	v_mul_f64 v[70:71], v[72:73], v[56:57]
	v_fma_f64 v[54:55], -v[54:55], v[70:71], v[72:73]
	v_div_fmas_f64 v[54:55], v[54:55], v[56:57], v[70:71]
	v_div_fixup_f64 v[52:53], v[54:55], v[50:51], v[52:53]
	v_fma_f64 v[52:53], v[52:53], v[52:53], 1.0
	v_cmp_gt_f64_e32 vcc_lo, 0x10000000, v[52:53]
	v_cndmask_b32_e64 v44, 0, 0x100, vcc_lo
	v_ldexp_f64 v[52:53], v[52:53], v44
	v_cndmask_b32_e64 v44, 0, 0xffffff80, vcc_lo
	v_rsq_f64_e32 v[54:55], v[52:53]
	v_cmp_class_f64_e64 vcc_lo, v[52:53], 0x260
	v_mul_f64 v[56:57], v[52:53], v[54:55]
	v_mul_f64 v[54:55], v[54:55], 0.5
	v_fma_f64 v[70:71], -v[54:55], v[56:57], 0.5
	v_fma_f64 v[56:57], v[56:57], v[70:71], v[56:57]
	v_fma_f64 v[54:55], v[54:55], v[70:71], v[54:55]
	v_fma_f64 v[70:71], -v[56:57], v[56:57], v[52:53]
	v_fma_f64 v[56:57], v[70:71], v[54:55], v[56:57]
	v_fma_f64 v[70:71], -v[56:57], v[56:57], v[52:53]
	v_fma_f64 v[54:55], v[70:71], v[54:55], v[56:57]
	v_ldexp_f64 v[54:55], v[54:55], v44
	v_cndmask_b32_e32 v53, v55, v53, vcc_lo
	v_cndmask_b32_e32 v52, v54, v52, vcc_lo
	v_mul_f64 v[54:55], v[50:51], v[52:53]
.LBB11_22:
	s_or_b32 exec_lo, exec_lo, s8
	v_cmp_gt_f64_e32 vcc_lo, 0x10000000, v[54:55]
	s_sub_i32 s5, s5, s2
	v_cndmask_b32_e64 v44, 0, 0x100, vcc_lo
	v_ldexp_f64 v[50:51], v[54:55], v44
	v_cndmask_b32_e64 v44, 0, 0xffffff80, vcc_lo
	v_rsq_f64_e32 v[52:53], v[50:51]
	v_cmp_class_f64_e64 vcc_lo, v[50:51], 0x260
	v_mul_f64 v[54:55], v[50:51], v[52:53]
	v_mul_f64 v[52:53], v[52:53], 0.5
	v_fma_f64 v[56:57], -v[52:53], v[54:55], 0.5
	v_fma_f64 v[54:55], v[54:55], v[56:57], v[54:55]
	v_fma_f64 v[52:53], v[52:53], v[56:57], v[52:53]
	v_fma_f64 v[56:57], -v[54:55], v[54:55], v[50:51]
	v_fma_f64 v[54:55], v[56:57], v[52:53], v[54:55]
	v_fma_f64 v[56:57], -v[54:55], v[54:55], v[50:51]
	v_fma_f64 v[52:53], v[56:57], v[52:53], v[54:55]
	v_ldexp_f64 v[52:53], v[52:53], v44
	v_cndmask_b32_e32 v51, v53, v51, vcc_lo
	v_cndmask_b32_e32 v50, v52, v50, vcc_lo
	v_fma_f64 v[52:53], v[50:51], v[50:51], 0
	v_div_scale_f64 v[54:55], null, v[52:53], v[52:53], 1.0
	v_div_scale_f64 v[72:73], vcc_lo, 1.0, v[52:53], 1.0
	v_rcp_f64_e32 v[56:57], v[54:55]
	v_fma_f64 v[70:71], -v[54:55], v[56:57], 1.0
	v_fma_f64 v[56:57], v[56:57], v[70:71], v[56:57]
	v_fma_f64 v[70:71], -v[54:55], v[56:57], 1.0
	v_fma_f64 v[56:57], v[56:57], v[70:71], v[56:57]
	v_mul_f64 v[70:71], v[72:73], v[56:57]
	v_fma_f64 v[54:55], -v[54:55], v[70:71], v[72:73]
	v_mul_f64 v[72:73], 0x80000000, v[29:30]
	v_div_fmas_f64 v[54:55], v[54:55], v[56:57], v[70:71]
	v_mul_f64 v[70:71], 0x80000000, v[31:32]
	v_fma_f64 v[72:73], -v[31:32], v[50:51], v[72:73]
	v_mul_f64 v[56:57], 0x80000000, v[21:22]
	v_div_fixup_f64 v[74:75], v[54:55], v[52:53], 1.0
	v_mul_f64 v[54:55], 0x80000000, v[23:24]
	v_fma_f64 v[70:71], v[29:30], v[50:51], v[70:71]
	v_fma_f64 v[56:57], -v[23:24], v[50:51], v[56:57]
	v_mul_f64 v[52:53], v[72:73], v[74:75]
	v_fma_f64 v[72:73], v[21:22], v[50:51], v[54:55]
	v_mul_f64 v[50:51], v[70:71], v[74:75]
	v_mul_f64 v[54:55], v[56:57], v[74:75]
	v_mul_f64 v[70:71], v[52:53], -v[31:32]
	v_mul_f64 v[76:77], v[29:30], v[52:53]
	v_mul_f64 v[56:57], v[72:73], v[74:75]
	s_waitcnt vmcnt(6)
	v_mul_f64 v[72:73], v[35:36], v[54:55]
	v_mul_f64 v[74:75], v[52:53], -v[35:36]
	v_fma_f64 v[29:30], v[29:30], v[50:51], v[70:71]
	v_fma_f64 v[31:32], v[31:32], v[50:51], v[76:77]
	v_add_co_u32 v76, vcc_lo, s6, v64
	v_add_co_ci_u32_e64 v77, null, s7, v65, vcc_lo
	v_mul_f64 v[70:71], v[33:34], -v[54:55]
	v_fma_f64 v[72:73], v[33:34], v[56:57], v[72:73]
	v_fma_f64 v[74:75], v[33:34], v[50:51], v[74:75]
	v_mul_f64 v[33:34], v[33:34], v[52:53]
	v_add_co_u32 v78, vcc_lo, s6, v62
	v_add_co_ci_u32_e64 v79, null, s7, v63, vcc_lo
	v_fma_f64 v[29:30], v[21:22], v[56:57], v[29:30]
	v_fma_f64 v[31:32], v[23:24], v[56:57], v[31:32]
	;; [unrolled: 1-line block ×4, first 2 shown]
	s_waitcnt vmcnt(5)
	v_fma_f64 v[35:36], -v[25:26], v[50:51], v[72:73]
	v_fma_f64 v[29:30], -v[23:24], v[54:55], v[29:30]
	v_fma_f64 v[31:32], v[21:22], v[54:55], v[31:32]
	global_load_dwordx4 v[21:24], v[76:77], off
	v_fma_f64 v[64:65], -v[27:28], v[50:51], v[70:71]
	v_fma_f64 v[70:71], v[25:26], v[56:57], v[74:75]
	v_fma_f64 v[72:73], v[27:28], v[56:57], v[33:34]
	v_fma_f64 v[33:34], v[27:28], -v[52:53], v[35:36]
	global_store_dwordx4 v[58:59], v[29:32], off
	v_fma_f64 v[35:36], v[25:26], v[52:53], v[64:65]
	v_fma_f64 v[70:71], -v[27:28], v[54:55], v[70:71]
	s_waitcnt vmcnt(5)
	v_mul_f64 v[27:28], v[17:18], -v[54:55]
	v_fma_f64 v[72:73], v[25:26], v[54:55], v[72:73]
	v_mul_f64 v[25:26], v[19:20], v[54:55]
	global_store_dwordx4 v[66:67], v[33:36], off
	v_fma_f64 v[27:28], v[19:20], v[56:57], v[27:28]
	global_store_dwordx4 v[60:61], v[70:73], off
	v_fma_f64 v[25:26], v[17:18], v[56:57], v[25:26]
	s_waitcnt vmcnt(4)
	v_fma_f64 v[74:75], -v[15:16], v[50:51], v[27:28]
	v_fma_f64 v[64:65], -v[13:14], v[50:51], v[25:26]
	global_load_dwordx4 v[25:28], v[78:79], off
	v_fma_f64 v[62:63], v[15:16], -v[52:53], v[64:65]
	v_fma_f64 v[64:65], v[13:14], v[52:53], v[74:75]
	global_store_dwordx4 v[68:69], v[62:65], off
	s_waitcnt vmcnt(1)
	v_mul_f64 v[70:71], v[52:53], -v[23:24]
	v_mul_f64 v[64:65], v[54:55], v[23:24]
	v_mul_f64 v[62:63], v[52:53], v[21:22]
	v_mul_f64 v[68:69], v[21:22], -v[54:55]
	v_fma_f64 v[70:71], v[21:22], v[50:51], v[70:71]
	v_fma_f64 v[64:65], v[21:22], v[56:57], v[64:65]
	v_mul_f64 v[21:22], v[35:36], v[35:36]
	v_fma_f64 v[62:63], v[23:24], v[50:51], v[62:63]
	v_fma_f64 v[68:69], v[23:24], v[56:57], v[68:69]
	;; [unrolled: 1-line block ×3, first 2 shown]
	v_div_scale_f64 v[21:22], null, v[72:73], v[72:73], 1.0
	s_waitcnt vmcnt(0)
	v_fma_f64 v[64:65], -v[25:26], v[50:51], v[64:65]
	v_fma_f64 v[62:63], v[27:28], v[56:57], v[62:63]
	v_rcp_f64_e32 v[23:24], v[21:22]
	v_fma_f64 v[64:65], v[27:28], -v[52:53], v[64:65]
	v_fma_f64 v[29:30], -v[21:22], v[23:24], 1.0
	v_fma_f64 v[23:24], v[23:24], v[29:30], v[23:24]
	v_fma_f64 v[29:30], -v[21:22], v[23:24], 1.0
	v_fma_f64 v[29:30], v[23:24], v[29:30], v[23:24]
	v_div_scale_f64 v[23:24], vcc_lo, 1.0, v[72:73], 1.0
	v_mul_f64 v[31:32], v[23:24], v[29:30]
	v_fma_f64 v[66:67], -v[21:22], v[31:32], v[23:24]
	global_load_dwordx4 v[21:24], v[58:59], off
	v_fma_f64 v[58:59], -v[27:28], v[50:51], v[68:69]
	v_div_fmas_f64 v[66:67], v[66:67], v[29:30], v[31:32]
	global_load_dwordx4 v[29:32], v[60:61], off
	v_fma_f64 v[58:59], v[25:26], v[52:53], v[58:59]
	v_div_fixup_f64 v[66:67], v[66:67], v[72:73], 1.0
	v_mul_f64 v[68:69], v[35:36], v[58:59]
	v_mul_f64 v[35:36], v[35:36], -v[64:65]
	v_fma_f64 v[60:61], v[64:65], v[33:34], v[68:69]
	v_fma_f64 v[64:65], v[25:26], v[56:57], v[70:71]
	;; [unrolled: 1-line block ×4, first 2 shown]
	v_mul_f64 v[70:71], v[52:53], -v[19:20]
	v_mul_f64 v[25:26], v[66:67], v[60:61]
	v_fma_f64 v[33:34], -v[27:28], v[54:55], v[64:65]
	v_mul_f64 v[27:28], v[66:67], v[58:59]
	v_add_nc_u32_e32 v66, s5, v45
	s_sub_i32 s5, s5, s2
	s_cmp_lt_i32 s0, 5
	v_add_nc_u32_e32 v44, s5, v45
	global_store_dwordx4 v[78:79], v[33:36], off
	global_store_dwordx4 v[76:77], v[25:28], off
	global_load_dwordx4 v[33:36], v[78:79], off
	v_ashrrev_i32_e32 v67, 31, v66
	v_ashrrev_i32_e32 v45, 31, v44
	s_waitcnt vmcnt(2)
	v_mul_f64 v[58:59], v[23:24], v[23:24]
	v_fma_f64 v[58:59], v[21:22], v[21:22], v[58:59]
	s_waitcnt vmcnt(1)
	v_mul_f64 v[68:69], v[27:28], -v[31:32]
	v_mul_f64 v[27:28], v[27:28], v[29:30]
	v_div_scale_f64 v[60:61], null, v[58:59], v[58:59], 1.0
	v_fma_f64 v[29:30], v[29:30], v[25:26], v[68:69]
	v_fma_f64 v[31:32], v[31:32], v[25:26], v[27:28]
	v_rcp_f64_e32 v[62:63], v[60:61]
	v_fma_f64 v[64:65], -v[60:61], v[62:63], 1.0
	v_fma_f64 v[62:63], v[62:63], v[64:65], v[62:63]
	v_lshlrev_b64 v[64:65], 4, v[66:67]
	s_waitcnt vmcnt(0)
	v_add_f64 v[29:30], v[33:34], -v[29:30]
	v_add_f64 v[31:32], v[35:36], -v[31:32]
	v_mul_f64 v[33:34], v[17:18], v[52:53]
	v_mul_f64 v[35:36], v[11:12], v[54:55]
	v_fma_f64 v[17:18], v[17:18], v[50:51], v[70:71]
	v_add_co_u32 v66, vcc_lo, s10, v64
	v_add_co_ci_u32_e64 v67, null, s11, v65, vcc_lo
	v_div_scale_f64 v[68:69], vcc_lo, 1.0, v[58:59], 1.0
	global_load_dwordx4 v[25:28], v[66:67], off
	v_fma_f64 v[66:67], -v[60:61], v[62:63], 1.0
	v_fma_f64 v[19:20], v[19:20], v[50:51], v[33:34]
	v_fma_f64 v[33:34], v[9:10], v[56:57], v[35:36]
	;; [unrolled: 1-line block ×5, first 2 shown]
	v_fma_f64 v[33:34], -v[5:6], v[50:51], v[33:34]
	v_fma_f64 v[15:16], -v[15:16], v[54:55], v[17:18]
	v_mul_f64 v[66:67], v[68:69], v[62:63]
	v_fma_f64 v[17:18], v[13:14], v[54:55], v[19:20]
	v_fma_f64 v[19:20], v[7:8], -v[52:53], v[33:34]
	v_fma_f64 v[60:61], -v[60:61], v[66:67], v[68:69]
	v_mul_f64 v[68:69], v[9:10], -v[54:55]
	v_div_fmas_f64 v[60:61], v[60:61], v[62:63], v[66:67]
	v_fma_f64 v[35:36], v[11:12], v[56:57], v[68:69]
	v_mul_f64 v[62:63], v[31:32], v[23:24]
	v_mul_f64 v[23:24], v[23:24], -v[29:30]
	v_lshlrev_b64 v[68:69], 4, v[44:45]
	v_div_fixup_f64 v[58:59], v[60:61], v[58:59], 1.0
	v_fma_f64 v[35:36], -v[7:8], v[50:51], v[35:36]
	v_fma_f64 v[60:61], v[29:30], v[21:22], v[62:63]
	v_fma_f64 v[23:24], v[31:32], v[21:22], v[23:24]
	v_add_co_u32 v29, vcc_lo, s12, v64
	v_add_co_ci_u32_e64 v30, null, s13, v65, vcc_lo
	v_add_co_u32 v13, vcc_lo, s14, v64
	v_add_co_ci_u32_e64 v14, null, s15, v65, vcc_lo
	global_load_dwordx4 v[29:32], v[29:30], off
	v_fma_f64 v[21:22], v[5:6], v[52:53], v[35:36]
	v_mul_f64 v[33:34], v[60:61], v[58:59]
	v_mul_f64 v[35:36], v[23:24], v[58:59]
	global_store_dwordx4 v[48:49], v[15:18], off
	global_store_dwordx4 v[46:47], v[19:22], off
	global_load_dwordx4 v[13:16], v[13:14], off
	v_add_co_u32 v48, vcc_lo, s6, v64
	global_store_dwordx4 v[78:79], v[33:36], off
	global_load_dwordx4 v[17:20], v[76:77], off
	v_add_co_ci_u32_e64 v49, null, s7, v65, vcc_lo
	v_add_co_u32 v44, vcc_lo, s10, v68
	v_add_co_ci_u32_e64 v45, null, s11, v69, vcc_lo
	global_load_dwordx4 v[21:24], v[48:49], off
	s_waitcnt vmcnt(4)
	v_mul_f64 v[46:47], v[27:28], v[27:28]
	v_fma_f64 v[58:59], v[25:26], v[25:26], v[46:47]
	v_div_scale_f64 v[60:61], null, v[58:59], v[58:59], 1.0
	v_rcp_f64_e32 v[46:47], v[60:61]
	v_fma_f64 v[62:63], -v[60:61], v[46:47], 1.0
	v_fma_f64 v[62:63], v[46:47], v[62:63], v[46:47]
	global_load_dwordx4 v[44:47], v[44:45], off
	s_waitcnt vmcnt(4)
	v_mul_f64 v[66:67], v[35:36], -v[31:32]
	v_mul_f64 v[35:36], v[29:30], v[35:36]
	v_fma_f64 v[64:65], -v[60:61], v[62:63], 1.0
	v_fma_f64 v[29:30], v[29:30], v[33:34], v[66:67]
	v_fma_f64 v[31:32], v[31:32], v[33:34], v[35:36]
	;; [unrolled: 1-line block ×3, first 2 shown]
	v_div_scale_f64 v[64:65], vcc_lo, 1.0, v[58:59], 1.0
	s_waitcnt vmcnt(2)
	v_mul_f64 v[33:34], v[19:20], v[13:14]
	v_mul_f64 v[19:20], v[19:20], -v[15:16]
	s_waitcnt vmcnt(1)
	v_add_f64 v[21:22], v[21:22], -v[29:30]
	v_add_f64 v[23:24], v[23:24], -v[31:32]
	v_mad_u64_u32 v[29:30], null, s1, -3, v[41:42]
	v_mul_f64 v[35:36], v[64:65], v[62:63]
	v_fma_f64 v[15:16], v[15:16], v[17:18], v[33:34]
	v_fma_f64 v[13:14], v[13:14], v[17:18], v[19:20]
	v_mul_f64 v[19:20], v[52:53], -v[11:12]
	v_fma_f64 v[17:18], -v[60:61], v[35:36], v[64:65]
	v_add_f64 v[15:16], v[23:24], -v[15:16]
	v_add_f64 v[13:14], v[21:22], -v[13:14]
	v_mul_f64 v[21:22], v[9:10], v[52:53]
	v_fma_f64 v[9:10], v[9:10], v[50:51], v[19:20]
	v_div_fmas_f64 v[17:18], v[17:18], v[62:63], v[35:36]
	v_add_co_u32 v19, vcc_lo, s12, v68
	v_add_co_ci_u32_e64 v20, null, s13, v69, vcc_lo
	v_add_co_u32 v30, vcc_lo, s14, v68
	v_add_co_ci_u32_e64 v31, null, s15, v69, vcc_lo
	v_add_co_u32 v33, vcc_lo, s6, v68
	v_mul_f64 v[23:24], v[27:28], v[15:16]
	v_mul_f64 v[27:28], v[27:28], -v[13:14]
	v_fma_f64 v[11:12], v[11:12], v[50:51], v[21:22]
	v_mul_f64 v[21:22], v[3:4], v[54:55]
	v_add_co_ci_u32_e64 v34, null, s7, v69, vcc_lo
	v_div_fixup_f64 v[17:18], v[17:18], v[58:59], 1.0
	v_fma_f64 v[13:14], v[13:14], v[25:26], v[23:24]
	v_fma_f64 v[15:16], v[15:16], v[25:26], v[27:28]
	;; [unrolled: 1-line block ×4, first 2 shown]
	v_mul_f64 v[27:28], v[1:2], -v[54:55]
	global_load_dwordx4 v[9:12], v[19:20], off
	v_mul_f64 v[13:14], v[13:14], v[17:18]
	v_mul_f64 v[15:16], v[17:18], v[15:16]
	v_fma_f64 v[17:18], v[1:2], v[56:57], v[21:22]
	v_fma_f64 v[21:22], -v[7:8], v[54:55], v[23:24]
	v_fma_f64 v[23:24], v[5:6], v[54:55], v[25:26]
	v_fma_f64 v[19:20], v[3:4], v[56:57], v[27:28]
	global_load_dwordx4 v[5:8], v[30:31], off
	v_ashrrev_i32_e32 v30, 31, v29
	v_lshlrev_b64 v[29:30], 4, v[29:30]
	v_add_co_u32 v29, vcc_lo, s16, v29
	v_add_co_ci_u32_e64 v30, null, s17, v30, vcc_lo
	global_store_dwordx4 v[48:49], v[13:16], off
	global_load_dwordx4 v[25:28], v[78:79], off
	global_store_dwordx4 v[39:40], v[21:24], off
	global_store_dwordx4 v[42:43], v[17:20], off
	global_load_dwordx4 v[17:20], v[33:34], off
	global_load_dwordx4 v[21:24], v[29:30], off
	;; [unrolled: 1-line block ×3, first 2 shown]
	s_waitcnt vmcnt(6)
	v_mul_f64 v[35:36], v[46:47], v[46:47]
	v_fma_f64 v[35:36], v[44:45], v[44:45], v[35:36]
	v_div_scale_f64 v[39:40], null, v[35:36], v[35:36], 1.0
	v_rcp_f64_e32 v[41:42], v[39:40]
	v_fma_f64 v[48:49], -v[39:40], v[41:42], 1.0
	v_fma_f64 v[41:42], v[41:42], v[48:49], v[41:42]
	v_fma_f64 v[54:55], -v[39:40], v[41:42], 1.0
	s_waitcnt vmcnt(5)
	v_mul_f64 v[48:49], v[15:16], -v[11:12]
	v_mul_f64 v[15:16], v[9:10], v[15:16]
	v_fma_f64 v[41:42], v[41:42], v[54:55], v[41:42]
	v_fma_f64 v[9:10], v[9:10], v[13:14], v[48:49]
	;; [unrolled: 1-line block ×3, first 2 shown]
	s_waitcnt vmcnt(3)
	v_mul_f64 v[13:14], v[27:28], v[5:6]
	v_mul_f64 v[15:16], v[27:28], -v[7:8]
	v_div_scale_f64 v[27:28], vcc_lo, 1.0, v[35:36], 1.0
	s_waitcnt vmcnt(2)
	v_add_f64 v[9:10], v[17:18], -v[9:10]
	v_add_f64 v[11:12], v[19:20], -v[11:12]
	s_waitcnt vmcnt(0)
	v_mul_f64 v[17:18], v[31:32], -v[23:24]
	v_mul_f64 v[19:20], v[31:32], v[21:22]
	v_fma_f64 v[7:8], v[7:8], v[25:26], v[13:14]
	v_fma_f64 v[5:6], v[5:6], v[25:26], v[15:16]
	v_mul_f64 v[13:14], v[27:28], v[41:42]
	v_fma_f64 v[15:16], v[21:22], v[29:30], v[17:18]
	v_fma_f64 v[17:18], v[23:24], v[29:30], v[19:20]
	v_add_f64 v[7:8], v[11:12], -v[7:8]
	v_add_f64 v[5:6], v[9:10], -v[5:6]
	v_fma_f64 v[9:10], -v[39:40], v[13:14], v[27:28]
	v_add_f64 v[7:8], v[7:8], -v[17:18]
	v_add_f64 v[5:6], v[5:6], -v[15:16]
	v_div_fmas_f64 v[9:10], v[9:10], v[41:42], v[13:14]
	v_mul_f64 v[15:16], v[52:53], -v[3:4]
	v_mul_f64 v[17:18], v[1:2], v[52:53]
	v_mul_f64 v[11:12], v[46:47], v[7:8]
	v_mul_f64 v[13:14], v[46:47], -v[5:6]
	v_div_fixup_f64 v[9:10], v[9:10], v[35:36], 1.0
	v_fma_f64 v[1:2], v[1:2], v[50:51], v[15:16]
	v_fma_f64 v[3:4], v[3:4], v[50:51], v[17:18]
	;; [unrolled: 1-line block ×4, first 2 shown]
	v_mul_f64 v[5:6], v[5:6], v[9:10]
	v_mul_f64 v[7:8], v[9:10], v[7:8]
	v_add_co_u32 v9, vcc_lo, s18, v37
	v_add_co_ci_u32_e64 v10, null, s19, v38, vcc_lo
	global_store_dwordx4 v[9:10], v[1:4], off
	global_store_dwordx4 v[33:34], v[5:8], off
	s_cbranch_scc1 .LBB11_25
; %bb.23:
	s_add_i32 s8, s0, -5
	s_add_i32 s5, s0, -4
	v_mad_u64_u32 v[1:2], null, s1, s8, v[0:1]
	s_add_i32 s0, s0, -3
	v_mad_u64_u32 v[2:3], null, s2, s5, v[0:1]
	v_mad_u64_u32 v[3:4], null, s2, s0, v[0:1]
	;; [unrolled: 1-line block ×4, first 2 shown]
	v_add_nc_u32_e32 v0, s4, v0
.LBB11_24:                              ; =>This Inner Loop Header: Depth=1
	v_add_nc_u32_e32 v6, s3, v5
	v_add_nc_u32_e32 v10, s3, v2
	;; [unrolled: 1-line block ×5, first 2 shown]
	v_ashrrev_i32_e32 v7, 31, v6
	v_ashrrev_i32_e32 v11, 31, v10
	;; [unrolled: 1-line block ×5, first 2 shown]
	v_lshlrev_b64 v[26:27], 4, v[6:7]
	v_lshlrev_b64 v[10:11], 4, v[10:11]
	;; [unrolled: 1-line block ×4, first 2 shown]
	v_add_nc_u32_e32 v20, s3, v0
	v_lshlrev_b64 v[28:29], 4, v[18:19]
	v_add_co_u32 v6, vcc_lo, s10, v26
	v_add_co_ci_u32_e64 v7, null, s11, v27, vcc_lo
	v_add_co_u32 v10, vcc_lo, s6, v10
	v_add_co_ci_u32_e64 v11, null, s7, v11, vcc_lo
	global_load_dwordx4 v[6:9], v[6:7], off
	v_add_co_u32 v14, vcc_lo, s12, v26
	v_add_co_ci_u32_e64 v15, null, s13, v27, vcc_lo
	global_load_dwordx4 v[10:13], v[10:11], off
	global_load_dwordx4 v[14:17], v[14:15], off
	v_add_co_u32 v18, vcc_lo, s6, v22
	v_add_co_ci_u32_e64 v19, null, s7, v23, vcc_lo
	v_add_co_u32 v22, vcc_lo, s14, v26
	v_ashrrev_i32_e32 v21, 31, v20
	v_add_co_ci_u32_e64 v23, null, s15, v27, vcc_lo
	v_add_co_u32 v30, vcc_lo, s16, v38
	v_lshlrev_b64 v[40:41], 4, v[20:21]
	global_load_dwordx4 v[18:21], v[18:19], off
	global_load_dwordx4 v[22:25], v[22:23], off
	v_add_co_ci_u32_e64 v31, null, s17, v39, vcc_lo
	v_add_co_u32 v28, vcc_lo, s6, v28
	v_add_co_ci_u32_e64 v29, null, s7, v29, vcc_lo
	v_add_co_u32 v46, vcc_lo, s6, v26
	v_add_co_ci_u32_e64 v47, null, s7, v27, vcc_lo
	global_load_dwordx4 v[26:29], v[28:29], off
	global_load_dwordx4 v[30:33], v[30:31], off
	;; [unrolled: 1-line block ×3, first 2 shown]
	v_add_co_u32 v40, vcc_lo, s6, v40
	v_add_co_ci_u32_e64 v41, null, s7, v41, vcc_lo
	v_add_co_u32 v42, vcc_lo, s18, v38
	v_add_co_ci_u32_e64 v43, null, s19, v39, vcc_lo
	global_load_dwordx4 v[38:41], v[40:41], off
	global_load_dwordx4 v[42:45], v[42:43], off
	v_subrev_nc_u32_e32 v1, s1, v1
	v_subrev_nc_u32_e32 v2, s2, v2
	v_subrev_nc_u32_e32 v3, s2, v3
	v_subrev_nc_u32_e32 v4, s2, v4
	v_subrev_nc_u32_e32 v0, s2, v0
	v_subrev_nc_u32_e32 v5, s2, v5
	s_add_i32 s5, s5, -1
	s_cmp_lg_u32 s5, 0
	s_waitcnt vmcnt(9)
	v_mul_f64 v[48:49], v[8:9], v[8:9]
	s_waitcnt vmcnt(7)
	v_mul_f64 v[54:55], v[12:13], v[14:15]
	v_mul_f64 v[12:13], v[12:13], -v[16:17]
	s_waitcnt vmcnt(5)
	v_mul_f64 v[58:59], v[20:21], -v[24:25]
	v_mul_f64 v[20:21], v[20:21], v[22:23]
	v_fma_f64 v[48:49], v[6:7], v[6:7], v[48:49]
	v_fma_f64 v[16:17], v[16:17], v[10:11], v[54:55]
	;; [unrolled: 1-line block ×3, first 2 shown]
	s_waitcnt vmcnt(3)
	v_mul_f64 v[14:15], v[28:29], -v[32:33]
	v_mul_f64 v[28:29], v[28:29], v[30:31]
	v_fma_f64 v[22:23], v[22:23], v[18:19], v[58:59]
	v_fma_f64 v[18:19], v[24:25], v[18:19], v[20:21]
	v_div_scale_f64 v[50:51], null, v[48:49], v[48:49], 1.0
	s_waitcnt vmcnt(0)
	v_mul_f64 v[24:25], v[40:41], -v[44:45]
	v_add_f64 v[16:17], v[36:37], -v[16:17]
	v_add_f64 v[10:11], v[34:35], -v[10:11]
	v_mul_f64 v[34:35], v[40:41], v[42:43]
	v_fma_f64 v[14:15], v[30:31], v[26:27], v[14:15]
	v_fma_f64 v[26:27], v[32:33], v[26:27], v[28:29]
	v_div_scale_f64 v[28:29], vcc_lo, 1.0, v[48:49], 1.0
	v_rcp_f64_e32 v[52:53], v[50:51]
	v_add_f64 v[16:17], v[16:17], -v[18:19]
	v_add_f64 v[10:11], v[10:11], -v[22:23]
	v_fma_f64 v[18:19], v[42:43], v[38:39], v[24:25]
	v_fma_f64 v[56:57], -v[50:51], v[52:53], 1.0
	v_add_f64 v[16:17], v[16:17], -v[26:27]
	v_add_f64 v[10:11], v[10:11], -v[14:15]
	v_fma_f64 v[12:13], v[52:53], v[56:57], v[52:53]
	v_add_f64 v[10:11], v[10:11], -v[18:19]
	v_fma_f64 v[20:21], -v[50:51], v[12:13], 1.0
	v_fma_f64 v[12:13], v[12:13], v[20:21], v[12:13]
	v_fma_f64 v[20:21], v[44:45], v[38:39], v[34:35]
	v_mul_f64 v[14:15], v[28:29], v[12:13]
	v_add_f64 v[16:17], v[16:17], -v[20:21]
	v_fma_f64 v[18:19], -v[50:51], v[14:15], v[28:29]
	v_mul_f64 v[20:21], v[8:9], v[16:17]
	v_mul_f64 v[8:9], v[8:9], -v[10:11]
	v_div_fmas_f64 v[12:13], v[18:19], v[12:13], v[14:15]
	v_fma_f64 v[10:11], v[10:11], v[6:7], v[20:21]
	v_fma_f64 v[8:9], v[16:17], v[6:7], v[8:9]
	v_div_fixup_f64 v[12:13], v[12:13], v[48:49], 1.0
	v_mul_f64 v[6:7], v[10:11], v[12:13]
	v_mul_f64 v[8:9], v[12:13], v[8:9]
	global_store_dwordx4 v[46:47], v[6:9], off
	s_cbranch_scc1 .LBB11_24
.LBB11_25:
	s_endpgm
	.section	.rodata,"a",@progbits
	.p2align	6, 0x0
	.amdhsa_kernel _ZN9rocsparseL39gpsv_interleaved_batch_givens_qr_kernelILj128E21rocsparse_complex_numIdEEEviiiPT0_S4_S4_S4_S4_S4_S4_S4_
		.amdhsa_group_segment_fixed_size 0
		.amdhsa_private_segment_fixed_size 0
		.amdhsa_kernarg_size 80
		.amdhsa_user_sgpr_count 6
		.amdhsa_user_sgpr_private_segment_buffer 1
		.amdhsa_user_sgpr_dispatch_ptr 0
		.amdhsa_user_sgpr_queue_ptr 0
		.amdhsa_user_sgpr_kernarg_segment_ptr 1
		.amdhsa_user_sgpr_dispatch_id 0
		.amdhsa_user_sgpr_flat_scratch_init 0
		.amdhsa_user_sgpr_private_segment_size 0
		.amdhsa_wavefront_size32 1
		.amdhsa_uses_dynamic_stack 0
		.amdhsa_system_sgpr_private_segment_wavefront_offset 0
		.amdhsa_system_sgpr_workgroup_id_x 1
		.amdhsa_system_sgpr_workgroup_id_y 0
		.amdhsa_system_sgpr_workgroup_id_z 0
		.amdhsa_system_sgpr_workgroup_info 0
		.amdhsa_system_vgpr_workitem_id 0
		.amdhsa_next_free_vgpr 80
		.amdhsa_next_free_sgpr 25
		.amdhsa_reserve_vcc 1
		.amdhsa_reserve_flat_scratch 0
		.amdhsa_float_round_mode_32 0
		.amdhsa_float_round_mode_16_64 0
		.amdhsa_float_denorm_mode_32 3
		.amdhsa_float_denorm_mode_16_64 3
		.amdhsa_dx10_clamp 1
		.amdhsa_ieee_mode 1
		.amdhsa_fp16_overflow 0
		.amdhsa_workgroup_processor_mode 1
		.amdhsa_memory_ordered 1
		.amdhsa_forward_progress 1
		.amdhsa_shared_vgpr_count 0
		.amdhsa_exception_fp_ieee_invalid_op 0
		.amdhsa_exception_fp_denorm_src 0
		.amdhsa_exception_fp_ieee_div_zero 0
		.amdhsa_exception_fp_ieee_overflow 0
		.amdhsa_exception_fp_ieee_underflow 0
		.amdhsa_exception_fp_ieee_inexact 0
		.amdhsa_exception_int_div_zero 0
	.end_amdhsa_kernel
	.section	.text._ZN9rocsparseL39gpsv_interleaved_batch_givens_qr_kernelILj128E21rocsparse_complex_numIdEEEviiiPT0_S4_S4_S4_S4_S4_S4_S4_,"axG",@progbits,_ZN9rocsparseL39gpsv_interleaved_batch_givens_qr_kernelILj128E21rocsparse_complex_numIdEEEviiiPT0_S4_S4_S4_S4_S4_S4_S4_,comdat
.Lfunc_end11:
	.size	_ZN9rocsparseL39gpsv_interleaved_batch_givens_qr_kernelILj128E21rocsparse_complex_numIdEEEviiiPT0_S4_S4_S4_S4_S4_S4_S4_, .Lfunc_end11-_ZN9rocsparseL39gpsv_interleaved_batch_givens_qr_kernelILj128E21rocsparse_complex_numIdEEEviiiPT0_S4_S4_S4_S4_S4_S4_S4_
                                        ; -- End function
	.set _ZN9rocsparseL39gpsv_interleaved_batch_givens_qr_kernelILj128E21rocsparse_complex_numIdEEEviiiPT0_S4_S4_S4_S4_S4_S4_S4_.num_vgpr, 80
	.set _ZN9rocsparseL39gpsv_interleaved_batch_givens_qr_kernelILj128E21rocsparse_complex_numIdEEEviiiPT0_S4_S4_S4_S4_S4_S4_S4_.num_agpr, 0
	.set _ZN9rocsparseL39gpsv_interleaved_batch_givens_qr_kernelILj128E21rocsparse_complex_numIdEEEviiiPT0_S4_S4_S4_S4_S4_S4_S4_.numbered_sgpr, 25
	.set _ZN9rocsparseL39gpsv_interleaved_batch_givens_qr_kernelILj128E21rocsparse_complex_numIdEEEviiiPT0_S4_S4_S4_S4_S4_S4_S4_.num_named_barrier, 0
	.set _ZN9rocsparseL39gpsv_interleaved_batch_givens_qr_kernelILj128E21rocsparse_complex_numIdEEEviiiPT0_S4_S4_S4_S4_S4_S4_S4_.private_seg_size, 0
	.set _ZN9rocsparseL39gpsv_interleaved_batch_givens_qr_kernelILj128E21rocsparse_complex_numIdEEEviiiPT0_S4_S4_S4_S4_S4_S4_S4_.uses_vcc, 1
	.set _ZN9rocsparseL39gpsv_interleaved_batch_givens_qr_kernelILj128E21rocsparse_complex_numIdEEEviiiPT0_S4_S4_S4_S4_S4_S4_S4_.uses_flat_scratch, 0
	.set _ZN9rocsparseL39gpsv_interleaved_batch_givens_qr_kernelILj128E21rocsparse_complex_numIdEEEviiiPT0_S4_S4_S4_S4_S4_S4_S4_.has_dyn_sized_stack, 0
	.set _ZN9rocsparseL39gpsv_interleaved_batch_givens_qr_kernelILj128E21rocsparse_complex_numIdEEEviiiPT0_S4_S4_S4_S4_S4_S4_S4_.has_recursion, 0
	.set _ZN9rocsparseL39gpsv_interleaved_batch_givens_qr_kernelILj128E21rocsparse_complex_numIdEEEviiiPT0_S4_S4_S4_S4_S4_S4_S4_.has_indirect_call, 0
	.section	.AMDGPU.csdata,"",@progbits
; Kernel info:
; codeLenInByte = 8292
; TotalNumSgprs: 27
; NumVgprs: 80
; ScratchSize: 0
; MemoryBound: 0
; FloatMode: 240
; IeeeMode: 1
; LDSByteSize: 0 bytes/workgroup (compile time only)
; SGPRBlocks: 0
; VGPRBlocks: 9
; NumSGPRsForWavesPerEU: 27
; NumVGPRsForWavesPerEU: 80
; Occupancy: 12
; WaveLimiterHint : 0
; COMPUTE_PGM_RSRC2:SCRATCH_EN: 0
; COMPUTE_PGM_RSRC2:USER_SGPR: 6
; COMPUTE_PGM_RSRC2:TRAP_HANDLER: 0
; COMPUTE_PGM_RSRC2:TGID_X_EN: 1
; COMPUTE_PGM_RSRC2:TGID_Y_EN: 0
; COMPUTE_PGM_RSRC2:TGID_Z_EN: 0
; COMPUTE_PGM_RSRC2:TIDIG_COMP_CNT: 0
	.section	.AMDGPU.gpr_maximums,"",@progbits
	.set amdgpu.max_num_vgpr, 0
	.set amdgpu.max_num_agpr, 0
	.set amdgpu.max_num_sgpr, 0
	.section	.AMDGPU.csdata,"",@progbits
	.type	__hip_cuid_4b3b143dd6ad30d3,@object ; @__hip_cuid_4b3b143dd6ad30d3
	.section	.bss,"aw",@nobits
	.globl	__hip_cuid_4b3b143dd6ad30d3
__hip_cuid_4b3b143dd6ad30d3:
	.byte	0                               ; 0x0
	.size	__hip_cuid_4b3b143dd6ad30d3, 1

	.ident	"AMD clang version 22.0.0git (https://github.com/RadeonOpenCompute/llvm-project roc-7.2.4 26084 f58b06dce1f9c15707c5f808fd002e18c2accf7e)"
	.section	".note.GNU-stack","",@progbits
	.addrsig
	.addrsig_sym __hip_cuid_4b3b143dd6ad30d3
	.amdgpu_metadata
---
amdhsa.kernels:
  - .args:
      - .offset:         0
        .size:           4
        .value_kind:     by_value
      - .offset:         4
        .size:           4
        .value_kind:     by_value
      - .offset:         8
        .size:           4
        .value_kind:     by_value
      - .actual_access:  read_only
        .address_space:  global
        .offset:         16
        .size:           8
        .value_kind:     global_buffer
      - .actual_access:  write_only
        .address_space:  global
        .offset:         24
        .size:           8
        .value_kind:     global_buffer
      - .offset:         32
        .size:           4
        .value_kind:     hidden_block_count_x
      - .offset:         36
        .size:           4
        .value_kind:     hidden_block_count_y
      - .offset:         40
        .size:           4
        .value_kind:     hidden_block_count_z
      - .offset:         44
        .size:           2
        .value_kind:     hidden_group_size_x
      - .offset:         46
        .size:           2
        .value_kind:     hidden_group_size_y
      - .offset:         48
        .size:           2
        .value_kind:     hidden_group_size_z
      - .offset:         50
        .size:           2
        .value_kind:     hidden_remainder_x
      - .offset:         52
        .size:           2
        .value_kind:     hidden_remainder_y
      - .offset:         54
        .size:           2
        .value_kind:     hidden_remainder_z
      - .offset:         72
        .size:           8
        .value_kind:     hidden_global_offset_x
      - .offset:         80
        .size:           8
        .value_kind:     hidden_global_offset_y
      - .offset:         88
        .size:           8
        .value_kind:     hidden_global_offset_z
      - .offset:         96
        .size:           2
        .value_kind:     hidden_grid_dims
    .group_segment_fixed_size: 0
    .kernarg_segment_align: 8
    .kernarg_segment_size: 288
    .language:       OpenCL C
    .language_version:
      - 2
      - 0
    .max_flat_workgroup_size: 256
    .name:           _ZN9rocsparseL19gpsv_strided_gatherILj256EfEEviiiPKT0_PS1_
    .private_segment_fixed_size: 0
    .sgpr_count:     10
    .sgpr_spill_count: 0
    .symbol:         _ZN9rocsparseL19gpsv_strided_gatherILj256EfEEviiiPKT0_PS1_.kd
    .uniform_work_group_size: 1
    .uses_dynamic_stack: false
    .vgpr_count:     5
    .vgpr_spill_count: 0
    .wavefront_size: 32
    .workgroup_processor_mode: 1
  - .args:
      - .offset:         0
        .size:           4
        .value_kind:     by_value
      - .offset:         4
        .size:           4
        .value_kind:     by_value
      - .offset:         8
        .size:           4
        .value_kind:     by_value
      - .address_space:  global
        .offset:         16
        .size:           8
        .value_kind:     global_buffer
      - .address_space:  global
        .offset:         24
        .size:           8
        .value_kind:     global_buffer
      - .address_space:  global
        .offset:         32
        .size:           8
        .value_kind:     global_buffer
      - .address_space:  global
        .offset:         40
        .size:           8
        .value_kind:     global_buffer
      - .address_space:  global
        .offset:         48
        .size:           8
        .value_kind:     global_buffer
      - .address_space:  global
        .offset:         56
        .size:           8
        .value_kind:     global_buffer
      - .address_space:  global
        .offset:         64
        .size:           8
        .value_kind:     global_buffer
      - .address_space:  global
        .offset:         72
        .size:           8
        .value_kind:     global_buffer
      - .address_space:  global
        .offset:         80
        .size:           8
        .value_kind:     global_buffer
      - .offset:         88
        .size:           4
        .value_kind:     hidden_block_count_x
      - .offset:         92
        .size:           4
        .value_kind:     hidden_block_count_y
      - .offset:         96
        .size:           4
        .value_kind:     hidden_block_count_z
      - .offset:         100
        .size:           2
        .value_kind:     hidden_group_size_x
      - .offset:         102
        .size:           2
        .value_kind:     hidden_group_size_y
      - .offset:         104
        .size:           2
        .value_kind:     hidden_group_size_z
      - .offset:         106
        .size:           2
        .value_kind:     hidden_remainder_x
      - .offset:         108
        .size:           2
        .value_kind:     hidden_remainder_y
      - .offset:         110
        .size:           2
        .value_kind:     hidden_remainder_z
      - .offset:         128
        .size:           8
        .value_kind:     hidden_global_offset_x
      - .offset:         136
        .size:           8
        .value_kind:     hidden_global_offset_y
      - .offset:         144
        .size:           8
        .value_kind:     hidden_global_offset_z
      - .offset:         152
        .size:           2
        .value_kind:     hidden_grid_dims
    .group_segment_fixed_size: 0
    .kernarg_segment_align: 8
    .kernarg_segment_size: 344
    .language:       OpenCL C
    .language_version:
      - 2
      - 0
    .max_flat_workgroup_size: 256
    .name:           _ZN9rocsparseL44gpsv_interleaved_batch_householder_qr_kernelILj256EfEEviiiPT0_S2_S2_S2_S2_S2_S2_S2_S2_
    .private_segment_fixed_size: 0
    .sgpr_count:     31
    .sgpr_spill_count: 0
    .symbol:         _ZN9rocsparseL44gpsv_interleaved_batch_householder_qr_kernelILj256EfEEviiiPT0_S2_S2_S2_S2_S2_S2_S2_S2_.kd
    .uniform_work_group_size: 1
    .uses_dynamic_stack: false
    .vgpr_count:     58
    .vgpr_spill_count: 0
    .wavefront_size: 32
    .workgroup_processor_mode: 1
  - .args:
      - .offset:         0
        .size:           4
        .value_kind:     by_value
      - .offset:         4
        .size:           4
        .value_kind:     by_value
      - .offset:         8
        .size:           4
        .value_kind:     by_value
      - .actual_access:  read_only
        .address_space:  global
        .offset:         16
        .size:           8
        .value_kind:     global_buffer
      - .address_space:  global
        .offset:         24
        .size:           8
        .value_kind:     global_buffer
      - .address_space:  global
        .offset:         32
        .size:           8
        .value_kind:     global_buffer
      - .address_space:  global
        .offset:         40
        .size:           8
        .value_kind:     global_buffer
      - .address_space:  global
        .offset:         48
        .size:           8
        .value_kind:     global_buffer
      - .address_space:  global
        .offset:         56
        .size:           8
        .value_kind:     global_buffer
      - .address_space:  global
        .offset:         64
        .size:           8
        .value_kind:     global_buffer
      - .address_space:  global
        .offset:         72
        .size:           8
        .value_kind:     global_buffer
    .group_segment_fixed_size: 0
    .kernarg_segment_align: 8
    .kernarg_segment_size: 80
    .language:       OpenCL C
    .language_version:
      - 2
      - 0
    .max_flat_workgroup_size: 128
    .name:           _ZN9rocsparseL39gpsv_interleaved_batch_givens_qr_kernelILj128EfEEviiiPT0_S2_S2_S2_S2_S2_S2_S2_
    .private_segment_fixed_size: 0
    .sgpr_count:     26
    .sgpr_spill_count: 0
    .symbol:         _ZN9rocsparseL39gpsv_interleaved_batch_givens_qr_kernelILj128EfEEviiiPT0_S2_S2_S2_S2_S2_S2_S2_.kd
    .uniform_work_group_size: 1
    .uses_dynamic_stack: false
    .vgpr_count:     54
    .vgpr_spill_count: 0
    .wavefront_size: 32
    .workgroup_processor_mode: 1
  - .args:
      - .offset:         0
        .size:           4
        .value_kind:     by_value
      - .offset:         4
        .size:           4
        .value_kind:     by_value
      - .offset:         8
        .size:           4
        .value_kind:     by_value
      - .actual_access:  read_only
        .address_space:  global
        .offset:         16
        .size:           8
        .value_kind:     global_buffer
      - .actual_access:  write_only
        .address_space:  global
        .offset:         24
        .size:           8
        .value_kind:     global_buffer
      - .offset:         32
        .size:           4
        .value_kind:     hidden_block_count_x
      - .offset:         36
        .size:           4
        .value_kind:     hidden_block_count_y
      - .offset:         40
        .size:           4
        .value_kind:     hidden_block_count_z
      - .offset:         44
        .size:           2
        .value_kind:     hidden_group_size_x
      - .offset:         46
        .size:           2
        .value_kind:     hidden_group_size_y
      - .offset:         48
        .size:           2
        .value_kind:     hidden_group_size_z
      - .offset:         50
        .size:           2
        .value_kind:     hidden_remainder_x
      - .offset:         52
        .size:           2
        .value_kind:     hidden_remainder_y
      - .offset:         54
        .size:           2
        .value_kind:     hidden_remainder_z
      - .offset:         72
        .size:           8
        .value_kind:     hidden_global_offset_x
      - .offset:         80
        .size:           8
        .value_kind:     hidden_global_offset_y
      - .offset:         88
        .size:           8
        .value_kind:     hidden_global_offset_z
      - .offset:         96
        .size:           2
        .value_kind:     hidden_grid_dims
    .group_segment_fixed_size: 0
    .kernarg_segment_align: 8
    .kernarg_segment_size: 288
    .language:       OpenCL C
    .language_version:
      - 2
      - 0
    .max_flat_workgroup_size: 256
    .name:           _ZN9rocsparseL19gpsv_strided_gatherILj256EdEEviiiPKT0_PS1_
    .private_segment_fixed_size: 0
    .sgpr_count:     10
    .sgpr_spill_count: 0
    .symbol:         _ZN9rocsparseL19gpsv_strided_gatherILj256EdEEviiiPKT0_PS1_.kd
    .uniform_work_group_size: 1
    .uses_dynamic_stack: false
    .vgpr_count:     8
    .vgpr_spill_count: 0
    .wavefront_size: 32
    .workgroup_processor_mode: 1
  - .args:
      - .offset:         0
        .size:           4
        .value_kind:     by_value
      - .offset:         4
        .size:           4
        .value_kind:     by_value
      - .offset:         8
        .size:           4
        .value_kind:     by_value
      - .address_space:  global
        .offset:         16
        .size:           8
        .value_kind:     global_buffer
      - .address_space:  global
        .offset:         24
        .size:           8
        .value_kind:     global_buffer
      - .address_space:  global
        .offset:         32
        .size:           8
        .value_kind:     global_buffer
      - .address_space:  global
        .offset:         40
        .size:           8
        .value_kind:     global_buffer
      - .address_space:  global
        .offset:         48
        .size:           8
        .value_kind:     global_buffer
      - .address_space:  global
        .offset:         56
        .size:           8
        .value_kind:     global_buffer
      - .address_space:  global
        .offset:         64
        .size:           8
        .value_kind:     global_buffer
      - .address_space:  global
        .offset:         72
        .size:           8
        .value_kind:     global_buffer
      - .address_space:  global
        .offset:         80
        .size:           8
        .value_kind:     global_buffer
      - .offset:         88
        .size:           4
        .value_kind:     hidden_block_count_x
      - .offset:         92
        .size:           4
        .value_kind:     hidden_block_count_y
      - .offset:         96
        .size:           4
        .value_kind:     hidden_block_count_z
      - .offset:         100
        .size:           2
        .value_kind:     hidden_group_size_x
      - .offset:         102
        .size:           2
        .value_kind:     hidden_group_size_y
      - .offset:         104
        .size:           2
        .value_kind:     hidden_group_size_z
      - .offset:         106
        .size:           2
        .value_kind:     hidden_remainder_x
      - .offset:         108
        .size:           2
        .value_kind:     hidden_remainder_y
      - .offset:         110
        .size:           2
        .value_kind:     hidden_remainder_z
      - .offset:         128
        .size:           8
        .value_kind:     hidden_global_offset_x
      - .offset:         136
        .size:           8
        .value_kind:     hidden_global_offset_y
      - .offset:         144
        .size:           8
        .value_kind:     hidden_global_offset_z
      - .offset:         152
        .size:           2
        .value_kind:     hidden_grid_dims
    .group_segment_fixed_size: 0
    .kernarg_segment_align: 8
    .kernarg_segment_size: 344
    .language:       OpenCL C
    .language_version:
      - 2
      - 0
    .max_flat_workgroup_size: 256
    .name:           _ZN9rocsparseL44gpsv_interleaved_batch_householder_qr_kernelILj256EdEEviiiPT0_S2_S2_S2_S2_S2_S2_S2_S2_
    .private_segment_fixed_size: 0
    .sgpr_count:     29
    .sgpr_spill_count: 0
    .symbol:         _ZN9rocsparseL44gpsv_interleaved_batch_householder_qr_kernelILj256EdEEviiiPT0_S2_S2_S2_S2_S2_S2_S2_S2_.kd
    .uniform_work_group_size: 1
    .uses_dynamic_stack: false
    .vgpr_count:     86
    .vgpr_spill_count: 0
    .wavefront_size: 32
    .workgroup_processor_mode: 1
  - .args:
      - .offset:         0
        .size:           4
        .value_kind:     by_value
      - .offset:         4
        .size:           4
        .value_kind:     by_value
      - .offset:         8
        .size:           4
        .value_kind:     by_value
      - .actual_access:  read_only
        .address_space:  global
        .offset:         16
        .size:           8
        .value_kind:     global_buffer
      - .address_space:  global
        .offset:         24
        .size:           8
        .value_kind:     global_buffer
      - .address_space:  global
        .offset:         32
        .size:           8
        .value_kind:     global_buffer
      - .address_space:  global
        .offset:         40
        .size:           8
        .value_kind:     global_buffer
      - .address_space:  global
        .offset:         48
        .size:           8
        .value_kind:     global_buffer
      - .address_space:  global
        .offset:         56
        .size:           8
        .value_kind:     global_buffer
      - .address_space:  global
        .offset:         64
        .size:           8
        .value_kind:     global_buffer
      - .address_space:  global
        .offset:         72
        .size:           8
        .value_kind:     global_buffer
    .group_segment_fixed_size: 0
    .kernarg_segment_align: 8
    .kernarg_segment_size: 80
    .language:       OpenCL C
    .language_version:
      - 2
      - 0
    .max_flat_workgroup_size: 128
    .name:           _ZN9rocsparseL39gpsv_interleaved_batch_givens_qr_kernelILj128EdEEviiiPT0_S2_S2_S2_S2_S2_S2_S2_
    .private_segment_fixed_size: 0
    .sgpr_count:     26
    .sgpr_spill_count: 0
    .symbol:         _ZN9rocsparseL39gpsv_interleaved_batch_givens_qr_kernelILj128EdEEviiiPT0_S2_S2_S2_S2_S2_S2_S2_.kd
    .uniform_work_group_size: 1
    .uses_dynamic_stack: false
    .vgpr_count:     65
    .vgpr_spill_count: 0
    .wavefront_size: 32
    .workgroup_processor_mode: 1
  - .args:
      - .offset:         0
        .size:           4
        .value_kind:     by_value
      - .offset:         4
        .size:           4
        .value_kind:     by_value
      - .offset:         8
        .size:           4
        .value_kind:     by_value
      - .actual_access:  read_only
        .address_space:  global
        .offset:         16
        .size:           8
        .value_kind:     global_buffer
      - .actual_access:  write_only
        .address_space:  global
        .offset:         24
        .size:           8
        .value_kind:     global_buffer
      - .offset:         32
        .size:           4
        .value_kind:     hidden_block_count_x
      - .offset:         36
        .size:           4
        .value_kind:     hidden_block_count_y
      - .offset:         40
        .size:           4
        .value_kind:     hidden_block_count_z
      - .offset:         44
        .size:           2
        .value_kind:     hidden_group_size_x
      - .offset:         46
        .size:           2
        .value_kind:     hidden_group_size_y
      - .offset:         48
        .size:           2
        .value_kind:     hidden_group_size_z
      - .offset:         50
        .size:           2
        .value_kind:     hidden_remainder_x
      - .offset:         52
        .size:           2
        .value_kind:     hidden_remainder_y
      - .offset:         54
        .size:           2
        .value_kind:     hidden_remainder_z
      - .offset:         72
        .size:           8
        .value_kind:     hidden_global_offset_x
      - .offset:         80
        .size:           8
        .value_kind:     hidden_global_offset_y
      - .offset:         88
        .size:           8
        .value_kind:     hidden_global_offset_z
      - .offset:         96
        .size:           2
        .value_kind:     hidden_grid_dims
    .group_segment_fixed_size: 0
    .kernarg_segment_align: 8
    .kernarg_segment_size: 288
    .language:       OpenCL C
    .language_version:
      - 2
      - 0
    .max_flat_workgroup_size: 256
    .name:           _ZN9rocsparseL19gpsv_strided_gatherILj256E21rocsparse_complex_numIfEEEviiiPKT0_PS3_
    .private_segment_fixed_size: 0
    .sgpr_count:     10
    .sgpr_spill_count: 0
    .symbol:         _ZN9rocsparseL19gpsv_strided_gatherILj256E21rocsparse_complex_numIfEEEviiiPKT0_PS3_.kd
    .uniform_work_group_size: 1
    .uses_dynamic_stack: false
    .vgpr_count:     8
    .vgpr_spill_count: 0
    .wavefront_size: 32
    .workgroup_processor_mode: 1
  - .args:
      - .offset:         0
        .size:           4
        .value_kind:     by_value
      - .offset:         4
        .size:           4
        .value_kind:     by_value
      - .offset:         8
        .size:           4
        .value_kind:     by_value
      - .address_space:  global
        .offset:         16
        .size:           8
        .value_kind:     global_buffer
      - .address_space:  global
        .offset:         24
        .size:           8
        .value_kind:     global_buffer
      - .address_space:  global
        .offset:         32
        .size:           8
        .value_kind:     global_buffer
      - .address_space:  global
        .offset:         40
        .size:           8
        .value_kind:     global_buffer
      - .address_space:  global
        .offset:         48
        .size:           8
        .value_kind:     global_buffer
      - .address_space:  global
        .offset:         56
        .size:           8
        .value_kind:     global_buffer
      - .address_space:  global
        .offset:         64
        .size:           8
        .value_kind:     global_buffer
      - .address_space:  global
        .offset:         72
        .size:           8
        .value_kind:     global_buffer
      - .address_space:  global
        .offset:         80
        .size:           8
        .value_kind:     global_buffer
      - .offset:         88
        .size:           4
        .value_kind:     hidden_block_count_x
      - .offset:         92
        .size:           4
        .value_kind:     hidden_block_count_y
      - .offset:         96
        .size:           4
        .value_kind:     hidden_block_count_z
      - .offset:         100
        .size:           2
        .value_kind:     hidden_group_size_x
      - .offset:         102
        .size:           2
        .value_kind:     hidden_group_size_y
      - .offset:         104
        .size:           2
        .value_kind:     hidden_group_size_z
      - .offset:         106
        .size:           2
        .value_kind:     hidden_remainder_x
      - .offset:         108
        .size:           2
        .value_kind:     hidden_remainder_y
      - .offset:         110
        .size:           2
        .value_kind:     hidden_remainder_z
      - .offset:         128
        .size:           8
        .value_kind:     hidden_global_offset_x
      - .offset:         136
        .size:           8
        .value_kind:     hidden_global_offset_y
      - .offset:         144
        .size:           8
        .value_kind:     hidden_global_offset_z
      - .offset:         152
        .size:           2
        .value_kind:     hidden_grid_dims
    .group_segment_fixed_size: 0
    .kernarg_segment_align: 8
    .kernarg_segment_size: 344
    .language:       OpenCL C
    .language_version:
      - 2
      - 0
    .max_flat_workgroup_size: 256
    .name:           _ZN9rocsparseL44gpsv_interleaved_batch_householder_qr_kernelILj256E21rocsparse_complex_numIfEEEviiiPT0_S4_S4_S4_S4_S4_S4_S4_S4_
    .private_segment_fixed_size: 0
    .sgpr_count:     31
    .sgpr_spill_count: 0
    .symbol:         _ZN9rocsparseL44gpsv_interleaved_batch_householder_qr_kernelILj256E21rocsparse_complex_numIfEEEviiiPT0_S4_S4_S4_S4_S4_S4_S4_S4_.kd
    .uniform_work_group_size: 1
    .uses_dynamic_stack: false
    .vgpr_count:     78
    .vgpr_spill_count: 0
    .wavefront_size: 32
    .workgroup_processor_mode: 1
  - .args:
      - .offset:         0
        .size:           4
        .value_kind:     by_value
      - .offset:         4
        .size:           4
        .value_kind:     by_value
      - .offset:         8
        .size:           4
        .value_kind:     by_value
      - .actual_access:  read_only
        .address_space:  global
        .offset:         16
        .size:           8
        .value_kind:     global_buffer
      - .address_space:  global
        .offset:         24
        .size:           8
        .value_kind:     global_buffer
      - .address_space:  global
        .offset:         32
        .size:           8
        .value_kind:     global_buffer
      - .address_space:  global
        .offset:         40
        .size:           8
        .value_kind:     global_buffer
      - .address_space:  global
        .offset:         48
        .size:           8
        .value_kind:     global_buffer
      - .address_space:  global
        .offset:         56
        .size:           8
        .value_kind:     global_buffer
      - .address_space:  global
        .offset:         64
        .size:           8
        .value_kind:     global_buffer
      - .address_space:  global
        .offset:         72
        .size:           8
        .value_kind:     global_buffer
    .group_segment_fixed_size: 0
    .kernarg_segment_align: 8
    .kernarg_segment_size: 80
    .language:       OpenCL C
    .language_version:
      - 2
      - 0
    .max_flat_workgroup_size: 128
    .name:           _ZN9rocsparseL39gpsv_interleaved_batch_givens_qr_kernelILj128E21rocsparse_complex_numIfEEEviiiPT0_S4_S4_S4_S4_S4_S4_S4_
    .private_segment_fixed_size: 0
    .sgpr_count:     28
    .sgpr_spill_count: 0
    .symbol:         _ZN9rocsparseL39gpsv_interleaved_batch_givens_qr_kernelILj128E21rocsparse_complex_numIfEEEviiiPT0_S4_S4_S4_S4_S4_S4_S4_.kd
    .uniform_work_group_size: 1
    .uses_dynamic_stack: false
    .vgpr_count:     65
    .vgpr_spill_count: 0
    .wavefront_size: 32
    .workgroup_processor_mode: 1
  - .args:
      - .offset:         0
        .size:           4
        .value_kind:     by_value
      - .offset:         4
        .size:           4
        .value_kind:     by_value
      - .offset:         8
        .size:           4
        .value_kind:     by_value
      - .actual_access:  read_only
        .address_space:  global
        .offset:         16
        .size:           8
        .value_kind:     global_buffer
      - .actual_access:  write_only
        .address_space:  global
        .offset:         24
        .size:           8
        .value_kind:     global_buffer
      - .offset:         32
        .size:           4
        .value_kind:     hidden_block_count_x
      - .offset:         36
        .size:           4
        .value_kind:     hidden_block_count_y
      - .offset:         40
        .size:           4
        .value_kind:     hidden_block_count_z
      - .offset:         44
        .size:           2
        .value_kind:     hidden_group_size_x
      - .offset:         46
        .size:           2
        .value_kind:     hidden_group_size_y
      - .offset:         48
        .size:           2
        .value_kind:     hidden_group_size_z
      - .offset:         50
        .size:           2
        .value_kind:     hidden_remainder_x
      - .offset:         52
        .size:           2
        .value_kind:     hidden_remainder_y
      - .offset:         54
        .size:           2
        .value_kind:     hidden_remainder_z
      - .offset:         72
        .size:           8
        .value_kind:     hidden_global_offset_x
      - .offset:         80
        .size:           8
        .value_kind:     hidden_global_offset_y
      - .offset:         88
        .size:           8
        .value_kind:     hidden_global_offset_z
      - .offset:         96
        .size:           2
        .value_kind:     hidden_grid_dims
    .group_segment_fixed_size: 0
    .kernarg_segment_align: 8
    .kernarg_segment_size: 288
    .language:       OpenCL C
    .language_version:
      - 2
      - 0
    .max_flat_workgroup_size: 256
    .name:           _ZN9rocsparseL19gpsv_strided_gatherILj256E21rocsparse_complex_numIdEEEviiiPKT0_PS3_
    .private_segment_fixed_size: 0
    .sgpr_count:     10
    .sgpr_spill_count: 0
    .symbol:         _ZN9rocsparseL19gpsv_strided_gatherILj256E21rocsparse_complex_numIdEEEviiiPKT0_PS3_.kd
    .uniform_work_group_size: 1
    .uses_dynamic_stack: false
    .vgpr_count:     10
    .vgpr_spill_count: 0
    .wavefront_size: 32
    .workgroup_processor_mode: 1
  - .args:
      - .offset:         0
        .size:           4
        .value_kind:     by_value
      - .offset:         4
        .size:           4
        .value_kind:     by_value
      - .offset:         8
        .size:           4
        .value_kind:     by_value
      - .address_space:  global
        .offset:         16
        .size:           8
        .value_kind:     global_buffer
      - .address_space:  global
        .offset:         24
        .size:           8
        .value_kind:     global_buffer
      - .address_space:  global
        .offset:         32
        .size:           8
        .value_kind:     global_buffer
      - .address_space:  global
        .offset:         40
        .size:           8
        .value_kind:     global_buffer
      - .address_space:  global
        .offset:         48
        .size:           8
        .value_kind:     global_buffer
      - .address_space:  global
        .offset:         56
        .size:           8
        .value_kind:     global_buffer
      - .address_space:  global
        .offset:         64
        .size:           8
        .value_kind:     global_buffer
      - .address_space:  global
        .offset:         72
        .size:           8
        .value_kind:     global_buffer
      - .address_space:  global
        .offset:         80
        .size:           8
        .value_kind:     global_buffer
      - .offset:         88
        .size:           4
        .value_kind:     hidden_block_count_x
      - .offset:         92
        .size:           4
        .value_kind:     hidden_block_count_y
      - .offset:         96
        .size:           4
        .value_kind:     hidden_block_count_z
      - .offset:         100
        .size:           2
        .value_kind:     hidden_group_size_x
      - .offset:         102
        .size:           2
        .value_kind:     hidden_group_size_y
      - .offset:         104
        .size:           2
        .value_kind:     hidden_group_size_z
      - .offset:         106
        .size:           2
        .value_kind:     hidden_remainder_x
      - .offset:         108
        .size:           2
        .value_kind:     hidden_remainder_y
      - .offset:         110
        .size:           2
        .value_kind:     hidden_remainder_z
      - .offset:         128
        .size:           8
        .value_kind:     hidden_global_offset_x
      - .offset:         136
        .size:           8
        .value_kind:     hidden_global_offset_y
      - .offset:         144
        .size:           8
        .value_kind:     hidden_global_offset_z
      - .offset:         152
        .size:           2
        .value_kind:     hidden_grid_dims
    .group_segment_fixed_size: 0
    .kernarg_segment_align: 8
    .kernarg_segment_size: 344
    .language:       OpenCL C
    .language_version:
      - 2
      - 0
    .max_flat_workgroup_size: 256
    .name:           _ZN9rocsparseL44gpsv_interleaved_batch_householder_qr_kernelILj256E21rocsparse_complex_numIdEEEviiiPT0_S4_S4_S4_S4_S4_S4_S4_S4_
    .private_segment_fixed_size: 0
    .sgpr_count:     31
    .sgpr_spill_count: 0
    .symbol:         _ZN9rocsparseL44gpsv_interleaved_batch_householder_qr_kernelILj256E21rocsparse_complex_numIdEEEviiiPT0_S4_S4_S4_S4_S4_S4_S4_S4_.kd
    .uniform_work_group_size: 1
    .uses_dynamic_stack: false
    .vgpr_count:     125
    .vgpr_spill_count: 0
    .wavefront_size: 32
    .workgroup_processor_mode: 1
  - .args:
      - .offset:         0
        .size:           4
        .value_kind:     by_value
      - .offset:         4
        .size:           4
        .value_kind:     by_value
      - .offset:         8
        .size:           4
        .value_kind:     by_value
      - .actual_access:  read_only
        .address_space:  global
        .offset:         16
        .size:           8
        .value_kind:     global_buffer
      - .address_space:  global
        .offset:         24
        .size:           8
        .value_kind:     global_buffer
      - .address_space:  global
        .offset:         32
        .size:           8
        .value_kind:     global_buffer
      - .address_space:  global
        .offset:         40
        .size:           8
        .value_kind:     global_buffer
      - .address_space:  global
        .offset:         48
        .size:           8
        .value_kind:     global_buffer
      - .address_space:  global
        .offset:         56
        .size:           8
        .value_kind:     global_buffer
      - .address_space:  global
        .offset:         64
        .size:           8
        .value_kind:     global_buffer
      - .address_space:  global
        .offset:         72
        .size:           8
        .value_kind:     global_buffer
    .group_segment_fixed_size: 0
    .kernarg_segment_align: 8
    .kernarg_segment_size: 80
    .language:       OpenCL C
    .language_version:
      - 2
      - 0
    .max_flat_workgroup_size: 128
    .name:           _ZN9rocsparseL39gpsv_interleaved_batch_givens_qr_kernelILj128E21rocsparse_complex_numIdEEEviiiPT0_S4_S4_S4_S4_S4_S4_S4_
    .private_segment_fixed_size: 0
    .sgpr_count:     27
    .sgpr_spill_count: 0
    .symbol:         _ZN9rocsparseL39gpsv_interleaved_batch_givens_qr_kernelILj128E21rocsparse_complex_numIdEEEviiiPT0_S4_S4_S4_S4_S4_S4_S4_.kd
    .uniform_work_group_size: 1
    .uses_dynamic_stack: false
    .vgpr_count:     80
    .vgpr_spill_count: 0
    .wavefront_size: 32
    .workgroup_processor_mode: 1
amdhsa.target:   amdgcn-amd-amdhsa--gfx1030
amdhsa.version:
  - 1
  - 2
...

	.end_amdgpu_metadata
